;; amdgpu-corpus repo=ROCm/rocFFT kind=compiled arch=gfx1201 opt=O3
	.text
	.amdgcn_target "amdgcn-amd-amdhsa--gfx1201"
	.amdhsa_code_object_version 6
	.protected	bluestein_single_back_len1715_dim1_sp_op_CI_CI ; -- Begin function bluestein_single_back_len1715_dim1_sp_op_CI_CI
	.globl	bluestein_single_back_len1715_dim1_sp_op_CI_CI
	.p2align	8
	.type	bluestein_single_back_len1715_dim1_sp_op_CI_CI,@function
bluestein_single_back_len1715_dim1_sp_op_CI_CI: ; @bluestein_single_back_len1715_dim1_sp_op_CI_CI
; %bb.0:
	s_load_b128 s[12:15], s[0:1], 0x28
	v_mul_u32_u24_e32 v1, 0x10c, v0
	s_mov_b32 s2, exec_lo
	v_mov_b32_e32 v37, 0
	s_delay_alu instid0(VALU_DEP_2) | instskip(NEXT) | instid1(VALU_DEP_1)
	v_lshrrev_b32_e32 v1, 16, v1
	v_add_nc_u32_e32 v36, ttmp9, v1
	s_wait_kmcnt 0x0
	s_delay_alu instid0(VALU_DEP_1)
	v_cmpx_gt_u64_e64 s[12:13], v[36:37]
	s_cbranch_execz .LBB0_15
; %bb.1:
	s_clause 0x1
	s_load_b128 s[4:7], s[0:1], 0x18
	s_load_b64 s[12:13], s[0:1], 0x0
	v_mul_lo_u16 v1, 0xf5, v1
	s_delay_alu instid0(VALU_DEP_1) | instskip(NEXT) | instid1(VALU_DEP_1)
	v_sub_nc_u16 v16, v0, v1
	v_and_b32_e32 v70, 0xffff, v16
	s_wait_kmcnt 0x0
	s_load_b128 s[8:11], s[4:5], 0x0
	s_wait_kmcnt 0x0
	v_mad_co_u64_u32 v[0:1], null, s10, v36, 0
	v_mad_co_u64_u32 v[2:3], null, s8, v70, 0
	s_mul_u64 s[2:3], s[8:9], 0x157
	s_delay_alu instid0(VALU_DEP_1) | instskip(NEXT) | instid1(VALU_DEP_1)
	v_mad_co_u64_u32 v[4:5], null, s11, v36, v[1:2]
	v_mov_b32_e32 v1, v4
	s_delay_alu instid0(VALU_DEP_3)
	v_mad_co_u64_u32 v[5:6], null, s9, v70, v[3:4]
	v_lshlrev_b32_e32 v69, 3, v70
	s_clause 0x2
	global_load_b64 v[39:40], v69, s[12:13]
	global_load_b64 v[43:44], v69, s[12:13] offset:2744
	global_load_b64 v[41:42], v69, s[12:13] offset:5488
	v_mov_b32_e32 v3, v5
	v_lshlrev_b64_e32 v[0:1], 3, v[0:1]
	s_delay_alu instid0(VALU_DEP_2) | instskip(NEXT) | instid1(VALU_DEP_2)
	v_lshlrev_b64_e32 v[2:3], 3, v[2:3]
	v_add_co_u32 v0, vcc_lo, s14, v0
	s_delay_alu instid0(VALU_DEP_3) | instskip(SKIP_1) | instid1(VALU_DEP_2)
	v_add_co_ci_u32_e32 v1, vcc_lo, s15, v1, vcc_lo
	s_lshl_b64 s[14:15], s[2:3], 3
	v_add_co_u32 v0, vcc_lo, v0, v2
	s_wait_alu 0xfffd
	s_delay_alu instid0(VALU_DEP_2) | instskip(SKIP_1) | instid1(VALU_DEP_2)
	v_add_co_ci_u32_e32 v1, vcc_lo, v1, v3, vcc_lo
	s_wait_alu 0xfffe
	v_add_co_u32 v2, vcc_lo, v0, s14
	global_load_b64 v[4:5], v[0:1], off
	s_wait_alu 0xfffd
	v_add_co_ci_u32_e32 v3, vcc_lo, s15, v1, vcc_lo
	v_add_co_u32 v0, vcc_lo, v2, s14
	s_wait_alu 0xfffd
	s_delay_alu instid0(VALU_DEP_2) | instskip(NEXT) | instid1(VALU_DEP_2)
	v_add_co_ci_u32_e32 v1, vcc_lo, s15, v3, vcc_lo
	v_add_co_u32 v6, vcc_lo, v0, s14
	s_clause 0x1
	global_load_b64 v[2:3], v[2:3], off
	global_load_b64 v[8:9], v[0:1], off
	s_wait_alu 0xfffd
	v_add_co_ci_u32_e32 v7, vcc_lo, s15, v1, vcc_lo
	v_add_co_u32 v0, vcc_lo, v6, s14
	s_wait_alu 0xfffd
	s_delay_alu instid0(VALU_DEP_2)
	v_add_co_ci_u32_e32 v1, vcc_lo, s15, v7, vcc_lo
	v_cmp_gt_u16_e32 vcc_lo, 0x62, v16
	s_wait_loadcnt 0x2
	v_mul_f32_e32 v12, v5, v40
	global_load_b64 v[45:46], v69, s[12:13] offset:8232
	global_load_b64 v[6:7], v[6:7], off
	global_load_b64 v[47:48], v69, s[12:13] offset:10976
	global_load_b64 v[10:11], v[0:1], off
	s_load_b64 s[10:11], s[0:1], 0x38
	s_load_b128 s[4:7], s[6:7], 0x0
	v_mul_f32_e32 v13, v4, v40
	v_add_co_u32 v37, s2, s12, v69
	v_fmac_f32_e32 v12, v4, v39
	v_add_co_ci_u32_e64 v38, null, s13, 0, s2
	s_wait_loadcnt 0x5
	v_mul_f32_e32 v14, v3, v44
	s_wait_loadcnt 0x4
	v_dual_mul_f32 v4, v9, v42 :: v_dual_mul_f32 v15, v2, v44
	v_fma_f32 v13, v5, v39, -v13
	s_delay_alu instid0(VALU_DEP_2) | instskip(NEXT) | instid1(VALU_DEP_3)
	v_fmac_f32_e32 v4, v8, v41
	v_fma_f32 v15, v3, v43, -v15
	v_dual_mul_f32 v3, v8, v42 :: v_dual_fmac_f32 v14, v2, v43
	s_delay_alu instid0(VALU_DEP_1)
	v_fma_f32 v5, v9, v41, -v3
	s_wait_loadcnt 0x2
	v_mul_f32_e32 v2, v7, v46
	s_wait_loadcnt 0x0
	v_dual_mul_f32 v17, v6, v46 :: v_dual_mul_f32 v8, v11, v48
	v_mul_f32_e32 v18, v10, v48
	s_delay_alu instid0(VALU_DEP_3) | instskip(NEXT) | instid1(VALU_DEP_3)
	v_fmac_f32_e32 v2, v6, v45
	v_fma_f32 v3, v7, v45, -v17
	s_delay_alu instid0(VALU_DEP_4) | instskip(NEXT) | instid1(VALU_DEP_4)
	v_fmac_f32_e32 v8, v10, v47
	v_fma_f32 v9, v11, v47, -v18
	ds_store_b64 v69, v[12:13]
	ds_store_b64 v69, v[14:15] offset:2744
	ds_store_b64 v69, v[4:5] offset:5488
	ds_store_b64 v69, v[2:3] offset:8232
	ds_store_b64 v69, v[8:9] offset:10976
	s_and_saveexec_b32 s3, vcc_lo
	s_cbranch_execz .LBB0_3
; %bb.2:
	v_mad_co_u64_u32 v[0:1], null, 0xffffdcc8, s8, v[0:1]
	s_mul_i32 s2, s9, 0xffffdcc8
	s_clause 0x2
	global_load_b64 v[2:3], v[37:38], off offset:1960
	global_load_b64 v[4:5], v[37:38], off offset:4704
	;; [unrolled: 1-line block ×3, first 2 shown]
	s_wait_alu 0xfffe
	s_sub_co_i32 s2, s2, s8
	s_wait_alu 0xfffe
	v_add_nc_u32_e32 v1, s2, v1
	v_add_co_u32 v8, s2, v0, s14
	s_wait_alu 0xf1ff
	s_delay_alu instid0(VALU_DEP_2) | instskip(NEXT) | instid1(VALU_DEP_2)
	v_add_co_ci_u32_e64 v9, s2, s15, v1, s2
	v_add_co_u32 v10, s2, v8, s14
	global_load_b64 v[0:1], v[0:1], off
	s_wait_alu 0xf1ff
	v_add_co_ci_u32_e64 v11, s2, s15, v9, s2
	v_add_co_u32 v12, s2, v10, s14
	global_load_b64 v[8:9], v[8:9], off
	s_wait_alu 0xf1ff
	v_add_co_ci_u32_e64 v13, s2, s15, v11, s2
	global_load_b64 v[10:11], v[10:11], off
	v_add_co_u32 v14, s2, v12, s14
	s_wait_alu 0xf1ff
	v_add_co_ci_u32_e64 v15, s2, s15, v13, s2
	global_load_b64 v[16:17], v[37:38], off offset:10192
	global_load_b64 v[12:13], v[12:13], off
	global_load_b64 v[18:19], v[37:38], off offset:12936
	global_load_b64 v[14:15], v[14:15], off
	s_wait_loadcnt 0x6
	v_mul_f32_e32 v20, v1, v3
	v_mul_f32_e32 v21, v0, v3
	s_wait_loadcnt 0x5
	v_mul_f32_e32 v3, v9, v5
	v_mul_f32_e32 v5, v8, v5
	v_fmac_f32_e32 v20, v0, v2
	s_wait_loadcnt 0x4
	s_delay_alu instid0(VALU_DEP_3) | instskip(NEXT) | instid1(VALU_DEP_3)
	v_dual_mul_f32 v0, v11, v7 :: v_dual_fmac_f32 v3, v8, v4
	v_fma_f32 v4, v9, v4, -v5
	s_wait_loadcnt 0x0
	v_dual_mul_f32 v5, v13, v17 :: v_dual_mul_f32 v8, v14, v19
	s_delay_alu instid0(VALU_DEP_3)
	v_fmac_f32_e32 v0, v10, v6
	v_fma_f32 v21, v1, v2, -v21
	v_dual_mul_f32 v1, v10, v7 :: v_dual_mul_f32 v2, v12, v17
	v_mul_f32_e32 v7, v15, v19
	v_fmac_f32_e32 v5, v12, v16
	v_fma_f32 v8, v15, v18, -v8
	s_delay_alu instid0(VALU_DEP_4)
	v_fma_f32 v1, v11, v6, -v1
	v_fma_f32 v6, v13, v16, -v2
	v_fmac_f32_e32 v7, v14, v18
	ds_store_b64 v69, v[20:21] offset:1960
	ds_store_b64 v69, v[3:4] offset:4704
	;; [unrolled: 1-line block ×5, first 2 shown]
.LBB0_3:
	s_wait_alu 0xfffe
	s_or_b32 exec_lo, exec_lo, s3
	global_wb scope:SCOPE_SE
	s_wait_dscnt 0x0
	s_wait_kmcnt 0x0
	s_barrier_signal -1
	s_barrier_wait -1
	global_inv scope:SCOPE_SE
	ds_load_b64 v[10:11], v69
	ds_load_b64 v[12:13], v69 offset:2744
	ds_load_b64 v[14:15], v69 offset:5488
	;; [unrolled: 1-line block ×4, first 2 shown]
	s_load_b64 s[0:1], s[0:1], 0x8
                                        ; implicit-def: $vgpr0
                                        ; implicit-def: $vgpr2
                                        ; implicit-def: $vgpr4
                                        ; implicit-def: $vgpr6
                                        ; implicit-def: $vgpr8
	s_and_saveexec_b32 s2, vcc_lo
	s_cbranch_execz .LBB0_5
; %bb.4:
	ds_load_b64 v[0:1], v69 offset:1960
	ds_load_b64 v[2:3], v69 offset:4704
	;; [unrolled: 1-line block ×5, first 2 shown]
.LBB0_5:
	s_wait_alu 0xfffe
	s_or_b32 exec_lo, exec_lo, s2
	s_wait_dscnt 0x0
	v_dual_add_f32 v20, v14, v16 :: v_dual_sub_f32 v23, v13, v19
	v_dual_add_f32 v21, v10, v12 :: v_dual_sub_f32 v24, v12, v14
	v_dual_sub_f32 v25, v18, v16 :: v_dual_add_f32 v26, v12, v18
	s_delay_alu instid0(VALU_DEP_3) | instskip(NEXT) | instid1(VALU_DEP_3)
	v_fma_f32 v20, -0.5, v20, v10
	v_add_f32_e32 v21, v21, v14
	v_sub_f32_e32 v27, v15, v17
	v_sub_f32_e32 v31, v9, v7
	v_fma_f32 v10, -0.5, v26, v10
	v_fmamk_f32 v22, v23, 0x3f737871, v20
	v_dual_fmac_f32 v20, 0xbf737871, v23 :: v_dual_add_f32 v25, v24, v25
	s_delay_alu instid0(VALU_DEP_3) | instskip(NEXT) | instid1(VALU_DEP_3)
	v_dual_add_f32 v21, v21, v16 :: v_dual_fmamk_f32 v24, v27, 0xbf737871, v10
	v_fmac_f32_e32 v22, 0x3f167918, v27
	s_delay_alu instid0(VALU_DEP_3) | instskip(SKIP_1) | instid1(VALU_DEP_4)
	v_dual_fmac_f32 v20, 0xbf167918, v27 :: v_dual_sub_f32 v29, v16, v18
	v_dual_fmac_f32 v10, 0x3f737871, v27 :: v_dual_add_f32 v27, v11, v13
	v_dual_add_f32 v26, v21, v18 :: v_dual_sub_f32 v21, v14, v12
	s_delay_alu instid0(VALU_DEP_4) | instskip(SKIP_1) | instid1(VALU_DEP_4)
	v_fmac_f32_e32 v22, 0x3e9e377a, v25
	v_fmac_f32_e32 v24, 0x3f167918, v23
	;; [unrolled: 1-line block ×3, first 2 shown]
	v_dual_add_f32 v23, v27, v15 :: v_dual_sub_f32 v18, v12, v18
	v_add_f32_e32 v29, v21, v29
	v_mul_lo_u16 v32, v70, 5
	v_add_co_u32 v28, null, 0xf5, v70
	s_delay_alu instid0(VALU_DEP_4)
	v_add_f32_e32 v12, v23, v17
	v_dual_fmac_f32 v20, 0x3e9e377a, v25 :: v_dual_add_f32 v25, v13, v19
	v_add_f32_e32 v30, v15, v17
	v_sub_f32_e32 v14, v14, v16
	v_fmac_f32_e32 v24, 0x3e9e377a, v29
	v_mul_u32_u24_e32 v71, 5, v28
	global_wb scope:SCOPE_SE
	v_fma_f32 v21, -0.5, v30, v11
	v_fmac_f32_e32 v11, -0.5, v25
	s_wait_kmcnt 0x0
	s_barrier_signal -1
	s_barrier_wait -1
	global_inv scope:SCOPE_SE
	v_dual_fmamk_f32 v23, v18, 0xbf737871, v21 :: v_dual_sub_f32 v16, v13, v15
	v_fmac_f32_e32 v21, 0x3f737871, v18
	v_add_f32_e32 v27, v12, v19
	v_fmamk_f32 v25, v14, 0x3f737871, v11
	s_delay_alu instid0(VALU_DEP_4)
	v_fmac_f32_e32 v23, 0xbf167918, v14
	v_fmac_f32_e32 v10, 0x3e9e377a, v29
	v_sub_f32_e32 v29, v19, v17
	v_fmac_f32_e32 v21, 0x3f167918, v14
	v_sub_f32_e32 v13, v15, v13
	v_sub_f32_e32 v15, v17, v19
	s_delay_alu instid0(VALU_DEP_4) | instskip(SKIP_3) | instid1(VALU_DEP_4)
	v_dual_fmac_f32 v11, 0xbf737871, v14 :: v_dual_add_f32 v12, v16, v29
	v_add_f32_e32 v16, v4, v6
	v_dual_fmac_f32 v25, 0xbf167918, v18 :: v_dual_add_f32 v14, v2, v8
	v_sub_f32_e32 v19, v8, v6
	v_fmac_f32_e32 v23, 0x3e9e377a, v12
	v_fmac_f32_e32 v21, 0x3e9e377a, v12
	v_fma_f32 v12, -0.5, v16, v0
	v_dual_sub_f32 v16, v2, v4 :: v_dual_add_f32 v17, v13, v15
	v_fma_f32 v51, -0.5, v14, v0
	v_dual_sub_f32 v15, v5, v7 :: v_dual_sub_f32 v30, v3, v5
	s_delay_alu instid0(VALU_DEP_3) | instskip(SKIP_3) | instid1(VALU_DEP_3)
	v_dual_add_f32 v14, v16, v19 :: v_dual_sub_f32 v19, v2, v8
	v_fmac_f32_e32 v11, 0x3f167918, v18
	v_dual_sub_f32 v16, v4, v2 :: v_dual_fmac_f32 v25, 0x3e9e377a, v17
	v_dual_sub_f32 v18, v6, v8 :: v_dual_sub_f32 v13, v3, v9
	v_fmac_f32_e32 v11, 0x3e9e377a, v17
	v_add_f32_e32 v17, v5, v7
	s_delay_alu instid0(VALU_DEP_3) | instskip(SKIP_1) | instid1(VALU_DEP_3)
	v_add_f32_e32 v29, v16, v18
	v_sub_f32_e32 v18, v4, v6
	v_fma_f32 v16, -0.5, v17, v1
	v_add_f32_e32 v17, v3, v9
	s_delay_alu instid0(VALU_DEP_2) | instskip(NEXT) | instid1(VALU_DEP_2)
	v_fmamk_f32 v50, v19, 0x3f737871, v16
	v_fma_f32 v52, -0.5, v17, v1
	v_fmamk_f32 v53, v15, 0xbf737871, v51
	v_fmac_f32_e32 v51, 0x3f737871, v15
	v_add_f32_e32 v17, v30, v31
	v_sub_f32_e32 v30, v5, v3
	v_fmamk_f32 v54, v18, 0x3f737871, v52
	v_fmac_f32_e32 v52, 0xbf737871, v18
	v_dual_fmac_f32 v53, 0x3f167918, v13 :: v_dual_fmac_f32 v50, 0x3f167918, v18
	v_fmac_f32_e32 v51, 0xbf167918, v13
	v_sub_f32_e32 v31, v7, v9
	v_fmamk_f32 v49, v13, 0xbf737871, v12
	v_fmac_f32_e32 v54, 0xbf167918, v19
	v_fmac_f32_e32 v53, 0x3e9e377a, v29
	v_fmac_f32_e32 v52, 0x3f167918, v19
	v_add_f32_e32 v30, v30, v31
	v_fmac_f32_e32 v49, 0xbf167918, v15
	v_fmac_f32_e32 v51, 0x3e9e377a, v29
	v_and_b32_e32 v29, 0xffff, v32
	v_fmac_f32_e32 v50, 0x3e9e377a, v17
	v_fmac_f32_e32 v54, 0x3e9e377a, v30
	v_fmac_f32_e32 v49, 0x3e9e377a, v14
	s_delay_alu instid0(VALU_DEP_4)
	v_dual_fmac_f32 v52, 0x3e9e377a, v30 :: v_dual_lshlrev_b32 v73, 3, v29
	ds_store_2addr_b64 v73, v[26:27], v[22:23] offset1:1
	ds_store_2addr_b64 v73, v[24:25], v[10:11] offset0:2 offset1:3
	ds_store_b64 v73, v[20:21] offset:32
	s_and_saveexec_b32 s2, vcc_lo
	s_cbranch_execz .LBB0_7
; %bb.6:
	v_dual_mul_f32 v10, 0x3f737871, v13 :: v_dual_mul_f32 v13, 0x3f737871, v19
	v_dual_mul_f32 v11, 0x3f167918, v15 :: v_dual_add_f32 v0, v0, v2
	v_dual_add_f32 v1, v1, v3 :: v_dual_mul_f32 v14, 0x3e9e377a, v14
	s_delay_alu instid0(VALU_DEP_3) | instskip(NEXT) | instid1(VALU_DEP_2)
	v_dual_mul_f32 v2, 0x3f167918, v18 :: v_dual_sub_f32 v3, v16, v13
	v_dual_add_f32 v0, v0, v4 :: v_dual_add_f32 v1, v1, v5
	v_dual_add_f32 v5, v12, v10 :: v_dual_mul_f32 v4, 0x3e9e377a, v17
	s_delay_alu instid0(VALU_DEP_3) | instskip(NEXT) | instid1(VALU_DEP_3)
	v_sub_f32_e32 v2, v3, v2
	v_dual_add_f32 v6, v0, v6 :: v_dual_add_f32 v3, v1, v7
	s_delay_alu instid0(VALU_DEP_3) | instskip(NEXT) | instid1(VALU_DEP_2)
	v_add_f32_e32 v5, v11, v5
	v_dual_add_f32 v1, v4, v2 :: v_dual_add_f32 v2, v6, v8
	s_delay_alu instid0(VALU_DEP_3) | instskip(NEXT) | instid1(VALU_DEP_3)
	v_add_f32_e32 v3, v3, v9
	v_add_f32_e32 v0, v14, v5
	v_lshlrev_b32_e32 v4, 3, v71
	ds_store_2addr_b64 v4, v[2:3], v[0:1] offset1:1
	ds_store_2addr_b64 v4, v[53:54], v[51:52] offset0:2 offset1:3
	ds_store_b64 v4, v[49:50] offset:32
.LBB0_7:
	s_wait_alu 0xfffe
	s_or_b32 exec_lo, exec_lo, s2
	v_and_b32_e32 v12, 0xff, v70
	global_wb scope:SCOPE_SE
	s_wait_dscnt 0x0
	s_barrier_signal -1
	s_barrier_wait -1
	global_inv scope:SCOPE_SE
	v_mul_lo_u16 v0, 0xcd, v12
	v_mul_lo_u16 v12, 0xeb, v12
	s_delay_alu instid0(VALU_DEP_2) | instskip(NEXT) | instid1(VALU_DEP_2)
	v_lshrrev_b16 v20, 10, v0
	v_lshrrev_b16 v32, 13, v12
	s_delay_alu instid0(VALU_DEP_2) | instskip(NEXT) | instid1(VALU_DEP_2)
	v_mul_lo_u16 v0, v20, 5
	v_mul_lo_u16 v24, v32, 35
	s_delay_alu instid0(VALU_DEP_2) | instskip(NEXT) | instid1(VALU_DEP_2)
	v_sub_nc_u16 v0, v70, v0
	v_sub_nc_u16 v27, v70, v24
	s_delay_alu instid0(VALU_DEP_2) | instskip(NEXT) | instid1(VALU_DEP_1)
	v_and_b32_e32 v26, 0xff, v0
	v_mul_u32_u24_e32 v0, 6, v26
	s_delay_alu instid0(VALU_DEP_1)
	v_lshlrev_b32_e32 v0, 3, v0
	s_clause 0x2
	global_load_b128 v[8:11], v0, s[0:1]
	global_load_b128 v[4:7], v0, s[0:1] offset:16
	global_load_b128 v[0:3], v0, s[0:1] offset:32
	v_add_nc_u32_e32 v59, 0x1e80, v69
	ds_load_2addr_b64 v[12:15], v69 offset1:245
	v_and_b32_e32 v25, 0xffff, v20
	ds_load_2addr_b64 v[20:23], v59 offset0:4 offset1:249
	v_add_nc_u32_e32 v60, 0xf00, v69
	v_mul_u32_u24_e32 v28, 35, v25
	ds_load_b64 v[24:25], v69 offset:11760
	s_wait_loadcnt_dscnt 0x202
	v_mul_f32_e32 v29, v14, v9
	s_wait_loadcnt_dscnt 0x101
	v_mul_f32_e32 v35, v21, v7
	ds_load_2addr_b64 v[16:19], v60 offset0:10 offset1:255
	v_and_b32_e32 v61, 0xff, v27
	s_wait_loadcnt 0x0
	v_dual_mul_f32 v55, v20, v7 :: v_dual_mul_f32 v56, v23, v1
	s_wait_dscnt 0x1
	v_dual_mul_f32 v57, v22, v1 :: v_dual_mul_f32 v58, v25, v3
	v_dual_mul_f32 v62, v24, v3 :: v_dual_fmac_f32 v29, v15, v8
	global_wb scope:SCOPE_SE
	s_wait_dscnt 0x0
	v_fmac_f32_e32 v57, v23, v0
	s_barrier_signal -1
	v_fmac_f32_e32 v62, v25, v2
	s_barrier_wait -1
	global_inv scope:SCOPE_SE
	v_mul_f32_e32 v30, v17, v11
	v_mul_f32_e32 v31, v16, v11
	v_add_lshl_u32 v72, v28, v26, 3
	v_mul_f32_e32 v28, v15, v9
	v_mul_f32_e32 v33, v19, v5
	;; [unrolled: 1-line block ×3, first 2 shown]
	v_fma_f32 v15, v16, v10, -v30
	v_fmac_f32_e32 v31, v17, v10
	v_fma_f32 v14, v14, v8, -v28
	v_fma_f32 v16, v18, v4, -v33
	v_fmac_f32_e32 v34, v19, v4
	v_fma_f32 v17, v20, v6, -v35
	v_fma_f32 v18, v24, v2, -v58
	;; [unrolled: 1-line block ×3, first 2 shown]
	v_fmac_f32_e32 v55, v21, v6
	s_delay_alu instid0(VALU_DEP_4) | instskip(NEXT) | instid1(VALU_DEP_4)
	v_dual_add_f32 v21, v29, v62 :: v_dual_add_f32 v24, v16, v17
	v_dual_add_f32 v20, v14, v18 :: v_dual_add_f32 v23, v31, v57
	v_sub_f32_e32 v14, v14, v18
	v_sub_f32_e32 v18, v29, v62
	v_add_f32_e32 v22, v15, v19
	v_sub_f32_e32 v15, v15, v19
	v_sub_f32_e32 v19, v31, v57
	v_dual_add_f32 v25, v34, v55 :: v_dual_sub_f32 v16, v17, v16
	s_delay_alu instid0(VALU_DEP_4) | instskip(SKIP_2) | instid1(VALU_DEP_4)
	v_dual_sub_f32 v17, v55, v34 :: v_dual_add_f32 v28, v22, v20
	v_dual_add_f32 v29, v23, v21 :: v_dual_sub_f32 v30, v22, v20
	v_dual_sub_f32 v31, v23, v21 :: v_dual_sub_f32 v20, v20, v24
	v_dual_sub_f32 v21, v21, v25 :: v_dual_sub_f32 v22, v24, v22
	v_sub_f32_e32 v23, v25, v23
	v_add_f32_e32 v34, v17, v19
	v_dual_sub_f32 v55, v17, v19 :: v_dual_add_f32 v24, v24, v28
	v_sub_f32_e32 v17, v18, v17
	v_add_f32_e32 v33, v16, v15
	v_sub_f32_e32 v19, v19, v18
	v_dual_add_f32 v25, v25, v29 :: v_dual_mul_f32 v28, 0x3d64c772, v22
	v_dual_add_f32 v18, v34, v18 :: v_dual_sub_f32 v35, v16, v15
	v_dual_sub_f32 v16, v14, v16 :: v_dual_sub_f32 v15, v15, v14
	v_dual_mul_f32 v20, 0x3f4a47b2, v20 :: v_dual_mul_f32 v21, 0x3f4a47b2, v21
	v_dual_add_f32 v12, v12, v24 :: v_dual_mul_f32 v29, 0x3d64c772, v23
	v_mul_f32_e32 v34, 0xbf08b237, v55
	s_delay_alu instid0(VALU_DEP_3) | instskip(SKIP_1) | instid1(VALU_DEP_4)
	v_dual_fmamk_f32 v22, v22, 0x3d64c772, v20 :: v_dual_fmamk_f32 v23, v23, 0x3d64c772, v21
	v_fma_f32 v28, 0x3f3bfb3b, v30, -v28
	v_fma_f32 v29, 0x3f3bfb3b, v31, -v29
	;; [unrolled: 1-line block ×3, first 2 shown]
	v_fmamk_f32 v31, v17, 0x3eae86e6, v34
	v_dual_add_f32 v14, v33, v14 :: v_dual_mul_f32 v33, 0xbf08b237, v35
	v_add_f32_e32 v13, v13, v25
	v_fma_f32 v20, 0xbf3bfb3b, v30, -v20
	s_delay_alu instid0(VALU_DEP_4)
	v_fmac_f32_e32 v31, 0x3ee1c552, v18
	v_mul_f32_e32 v35, 0x3f5ff5aa, v15
	v_fmamk_f32 v30, v16, 0x3eae86e6, v33
	v_fma_f32 v33, 0x3f5ff5aa, v15, -v33
	v_fma_f32 v34, 0x3f5ff5aa, v19, -v34
	v_fmamk_f32 v15, v24, 0xbf955555, v12
	v_fma_f32 v35, 0xbeae86e6, v16, -v35
	v_fmamk_f32 v16, v25, 0xbf955555, v13
	v_mad_co_u64_u32 v[26:27], null, v61, 48, s[0:1]
	v_fmac_f32_e32 v34, 0x3ee1c552, v18
	v_add_f32_e32 v24, v22, v15
	s_delay_alu instid0(VALU_DEP_4) | instskip(SKIP_3) | instid1(VALU_DEP_3)
	v_dual_fmac_f32 v30, 0x3ee1c552, v14 :: v_dual_add_f32 v25, v23, v16
	v_add_f32_e32 v22, v28, v15
	v_add_f32_e32 v23, v20, v15
	v_dual_mul_f32 v55, 0x3f5ff5aa, v19 :: v_dual_add_f32 v28, v21, v16
	v_dual_add_f32 v21, v29, v16 :: v_dual_add_f32 v20, v34, v22
	v_sub_f32_e32 v15, v25, v30
	s_delay_alu instid0(VALU_DEP_3) | instskip(SKIP_1) | instid1(VALU_DEP_2)
	v_fma_f32 v55, 0xbeae86e6, v17, -v55
	v_add_f32_e32 v25, v30, v25
	v_fmac_f32_e32 v55, 0x3ee1c552, v18
	v_fmac_f32_e32 v33, 0x3ee1c552, v14
	v_sub_f32_e32 v18, v22, v34
	s_delay_alu instid0(VALU_DEP_3) | instskip(SKIP_4) | instid1(VALU_DEP_4)
	v_sub_f32_e32 v22, v23, v55
	v_dual_add_f32 v16, v55, v23 :: v_dual_fmac_f32 v35, 0x3ee1c552, v14
	v_add_f32_e32 v14, v31, v24
	v_dual_sub_f32 v24, v24, v31 :: v_dual_add_f32 v19, v33, v21
	v_sub_f32_e32 v21, v21, v33
	v_sub_f32_e32 v17, v28, v35
	v_add_f32_e32 v23, v35, v28
	ds_store_2addr_b64 v72, v[12:13], v[14:15] offset1:5
	ds_store_2addr_b64 v72, v[16:17], v[18:19] offset0:10 offset1:15
	ds_store_2addr_b64 v72, v[20:21], v[22:23] offset0:20 offset1:25
	ds_store_b64 v72, v[24:25] offset:240
	global_wb scope:SCOPE_SE
	s_wait_dscnt 0x0
	s_barrier_signal -1
	s_barrier_wait -1
	global_inv scope:SCOPE_SE
	s_clause 0x2
	global_load_b128 v[20:23], v[26:27], off offset:240
	global_load_b128 v[16:19], v[26:27], off offset:256
	;; [unrolled: 1-line block ×3, first 2 shown]
	ds_load_2addr_b64 v[24:27], v69 offset1:245
	ds_load_2addr_b64 v[28:31], v60 offset0:10 offset1:255
	s_wait_loadcnt_dscnt 0x200
	v_mul_f32_e32 v64, v28, v23
	s_wait_loadcnt 0x1
	v_dual_mul_f32 v66, v30, v17 :: v_dual_and_b32 v57, 0xffff, v32
	ds_load_2addr_b64 v[32:35], v59 offset0:4 offset1:249
	ds_load_b64 v[55:56], v69 offset:11760
	v_mul_f32_e32 v63, v29, v23
	v_fmac_f32_e32 v64, v29, v22
	v_fmac_f32_e32 v66, v31, v16
	v_mul_u32_u24_e32 v62, 0xf5, v57
	v_mad_co_u64_u32 v[57:58], null, v70, 48, s[0:1]
	global_wb scope:SCOPE_SE
	s_wait_loadcnt_dscnt 0x0
	s_barrier_signal -1
	v_add_lshl_u32 v74, v62, v61, 3
	v_mul_f32_e32 v62, v26, v21
	s_barrier_wait -1
	global_inv scope:SCOPE_SE
	s_add_nc_u64 s[0:1], s[12:13], 0x3598
	v_fmac_f32_e32 v62, v27, v20
	v_mul_f32_e32 v68, v32, v19
	v_mul_f32_e32 v78, v55, v15
	;; [unrolled: 1-line block ×5, first 2 shown]
	v_fmac_f32_e32 v68, v33, v18
	v_fmac_f32_e32 v78, v56, v14
	v_fma_f32 v26, v26, v20, -v61
	v_mul_f32_e32 v77, v56, v15
	v_dual_mul_f32 v67, v33, v19 :: v_dual_fmac_f32 v76, v35, v12
	v_fma_f32 v27, v28, v22, -v63
	v_fma_f32 v28, v30, v16, -v65
	s_delay_alu instid0(VALU_DEP_4)
	v_fma_f32 v30, v55, v14, -v77
	v_mul_f32_e32 v75, v35, v13
	v_fma_f32 v29, v32, v18, -v67
	v_add_f32_e32 v35, v64, v76
	v_add_f32_e32 v56, v66, v68
	;; [unrolled: 1-line block ×3, first 2 shown]
	v_fma_f32 v31, v34, v12, -v75
	v_add_f32_e32 v33, v62, v78
	v_sub_f32_e32 v26, v26, v30
	v_dual_sub_f32 v30, v62, v78 :: v_dual_add_f32 v55, v28, v29
	v_sub_f32_e32 v28, v29, v28
	v_add_f32_e32 v34, v27, v31
	v_sub_f32_e32 v27, v27, v31
	v_dual_sub_f32 v31, v64, v76 :: v_dual_add_f32 v62, v35, v33
	v_dual_sub_f32 v29, v68, v66 :: v_dual_sub_f32 v64, v35, v33
	s_delay_alu instid0(VALU_DEP_4)
	v_add_f32_e32 v61, v34, v32
	v_dual_sub_f32 v63, v34, v32 :: v_dual_sub_f32 v34, v55, v34
	v_dual_sub_f32 v32, v32, v55 :: v_dual_sub_f32 v33, v33, v56
	v_sub_f32_e32 v35, v56, v35
	v_add_f32_e32 v66, v29, v31
	v_dual_sub_f32 v68, v29, v31 :: v_dual_sub_f32 v29, v30, v29
	v_add_f32_e32 v65, v28, v27
	v_dual_sub_f32 v31, v31, v30 :: v_dual_mul_f32 v32, 0x3f4a47b2, v32
	v_add_f32_e32 v56, v56, v62
	v_dual_add_f32 v30, v66, v30 :: v_dual_sub_f32 v67, v28, v27
	v_dual_sub_f32 v28, v26, v28 :: v_dual_sub_f32 v27, v27, v26
	v_dual_add_f32 v26, v65, v26 :: v_dual_add_f32 v55, v55, v61
	v_mul_f32_e32 v62, 0x3d64c772, v35
	v_mul_f32_e32 v33, 0x3f4a47b2, v33
	v_dual_mul_f32 v61, 0x3d64c772, v34 :: v_dual_fmamk_f32 v34, v34, 0x3d64c772, v32
	v_dual_mul_f32 v65, 0xbf08b237, v67 :: v_dual_mul_f32 v66, 0xbf08b237, v68
	v_dual_mul_f32 v68, 0x3f5ff5aa, v31 :: v_dual_add_f32 v25, v25, v56
	v_add_f32_e32 v24, v24, v55
	s_delay_alu instid0(VALU_DEP_4)
	v_fma_f32 v61, 0x3f3bfb3b, v63, -v61
	v_fmamk_f32 v35, v35, 0x3d64c772, v33
	v_mul_f32_e32 v67, 0x3f5ff5aa, v27
	v_fma_f32 v62, 0x3f3bfb3b, v64, -v62
	v_fma_f32 v32, 0xbf3bfb3b, v63, -v32
	;; [unrolled: 1-line block ×3, first 2 shown]
	v_dual_fmamk_f32 v63, v28, 0x3eae86e6, v65 :: v_dual_fmamk_f32 v64, v29, 0x3eae86e6, v66
	v_fma_f32 v65, 0x3f5ff5aa, v27, -v65
	v_fma_f32 v67, 0xbeae86e6, v28, -v67
	v_dual_fmamk_f32 v27, v55, 0xbf955555, v24 :: v_dual_fmamk_f32 v28, v56, 0xbf955555, v25
	v_fma_f32 v66, 0x3f5ff5aa, v31, -v66
	v_fma_f32 v68, 0xbeae86e6, v29, -v68
	s_delay_alu instid0(VALU_DEP_3)
	v_dual_fmac_f32 v64, 0x3ee1c552, v30 :: v_dual_add_f32 v55, v34, v27
	v_dual_fmac_f32 v63, 0x3ee1c552, v26 :: v_dual_add_f32 v34, v61, v27
	v_add_f32_e32 v56, v35, v28
	v_dual_fmac_f32 v66, 0x3ee1c552, v30 :: v_dual_add_f32 v35, v32, v27
	v_dual_fmac_f32 v68, 0x3ee1c552, v30 :: v_dual_add_f32 v61, v33, v28
	v_fmac_f32_e32 v65, 0x3ee1c552, v26
	v_fmac_f32_e32 v67, 0x3ee1c552, v26
	v_dual_add_f32 v33, v62, v28 :: v_dual_add_f32 v26, v64, v55
	v_dual_sub_f32 v27, v56, v63 :: v_dual_sub_f32 v30, v34, v66
	s_delay_alu instid0(VALU_DEP_2)
	v_dual_add_f32 v28, v68, v35 :: v_dual_add_f32 v31, v65, v33
	v_add_f32_e32 v32, v66, v34
	v_dual_sub_f32 v34, v35, v68 :: v_dual_sub_f32 v29, v61, v67
	v_dual_add_f32 v56, v63, v56 :: v_dual_sub_f32 v33, v33, v65
	v_add_f32_e32 v35, v67, v61
	v_sub_f32_e32 v55, v55, v64
	ds_store_2addr_b64 v74, v[24:25], v[26:27] offset1:35
	ds_store_2addr_b64 v74, v[28:29], v[30:31] offset0:70 offset1:105
	ds_store_2addr_b64 v74, v[32:33], v[34:35] offset0:140 offset1:175
	ds_store_b64 v74, v[55:56] offset:1680
	global_wb scope:SCOPE_SE
	s_wait_dscnt 0x0
	s_barrier_signal -1
	s_barrier_wait -1
	global_inv scope:SCOPE_SE
	s_clause 0x2
	global_load_b128 v[32:35], v[57:58], off offset:1920
	global_load_b128 v[28:31], v[57:58], off offset:1936
	;; [unrolled: 1-line block ×3, first 2 shown]
	ds_load_2addr_b64 v[55:58], v69 offset1:245
	ds_load_2addr_b64 v[61:64], v60 offset0:10 offset1:255
	ds_load_2addr_b64 v[65:68], v59 offset0:4 offset1:249
	ds_load_b64 v[75:76], v69 offset:11760
	s_wait_loadcnt_dscnt 0x202
	v_dual_mul_f32 v78, v57, v33 :: v_dual_mul_f32 v79, v62, v35
	s_wait_loadcnt 0x1
	v_mul_f32_e32 v82, v63, v29
	v_dual_mul_f32 v77, v58, v33 :: v_dual_mul_f32 v80, v61, v35
	s_delay_alu instid0(VALU_DEP_3)
	v_dual_mul_f32 v81, v64, v29 :: v_dual_fmac_f32 v78, v58, v32
	s_wait_loadcnt_dscnt 0x1
	v_dual_mul_f32 v83, v66, v31 :: v_dual_mul_f32 v86, v67, v25
	v_dual_mul_f32 v84, v65, v31 :: v_dual_mul_f32 v85, v68, v25
	s_wait_dscnt 0x0
	v_dual_fmac_f32 v80, v62, v34 :: v_dual_mul_f32 v87, v76, v27
	v_mul_f32_e32 v88, v75, v27
	s_delay_alu instid0(VALU_DEP_3)
	v_fmac_f32_e32 v84, v66, v30
	v_fma_f32 v58, v61, v34, -v79
	v_fma_f32 v61, v63, v28, -v81
	v_fmac_f32_e32 v82, v64, v28
	v_fma_f32 v57, v57, v32, -v77
	v_fma_f32 v63, v75, v26, -v87
	v_fmac_f32_e32 v88, v76, v26
	v_fma_f32 v64, v67, v24, -v85
	v_fmac_f32_e32 v86, v68, v24
	v_fma_f32 v62, v65, v30, -v83
	v_add_f32_e32 v65, v57, v63
	v_dual_sub_f32 v57, v57, v63 :: v_dual_add_f32 v66, v78, v88
	s_delay_alu instid0(VALU_DEP_4) | instskip(SKIP_4) | instid1(VALU_DEP_4)
	v_dual_sub_f32 v63, v78, v88 :: v_dual_add_f32 v68, v80, v86
	v_add_f32_e32 v67, v58, v64
	v_sub_f32_e32 v58, v58, v64
	v_sub_f32_e32 v64, v80, v86
	v_dual_add_f32 v75, v61, v62 :: v_dual_add_f32 v76, v82, v84
	v_sub_f32_e32 v79, v67, v65
	v_dual_sub_f32 v61, v62, v61 :: v_dual_sub_f32 v62, v84, v82
	v_dual_add_f32 v77, v67, v65 :: v_dual_add_f32 v78, v68, v66
	s_delay_alu instid0(VALU_DEP_4) | instskip(SKIP_1) | instid1(VALU_DEP_4)
	v_dual_sub_f32 v65, v65, v75 :: v_dual_sub_f32 v80, v68, v66
	v_dual_sub_f32 v67, v75, v67 :: v_dual_sub_f32 v66, v66, v76
	v_dual_add_f32 v81, v61, v58 :: v_dual_sub_f32 v68, v76, v68
	v_dual_sub_f32 v83, v61, v58 :: v_dual_add_f32 v82, v62, v64
	v_dual_sub_f32 v85, v57, v61 :: v_dual_sub_f32 v84, v62, v64
	v_add_f32_e32 v75, v75, v77
	v_dual_sub_f32 v58, v58, v57 :: v_dual_mul_f32 v77, 0x3d64c772, v67
	v_add_f32_e32 v76, v76, v78
	v_dual_sub_f32 v64, v64, v63 :: v_dual_mul_f32 v65, 0x3f4a47b2, v65
	v_dual_sub_f32 v86, v63, v62 :: v_dual_add_f32 v57, v81, v57
	v_dual_add_f32 v63, v82, v63 :: v_dual_mul_f32 v66, 0x3f4a47b2, v66
	v_dual_add_f32 v61, v55, v75 :: v_dual_mul_f32 v78, 0x3d64c772, v68
	s_delay_alu instid0(VALU_DEP_4) | instskip(SKIP_4) | instid1(VALU_DEP_4)
	v_fmamk_f32 v55, v67, 0x3d64c772, v65
	v_dual_mul_f32 v81, 0xbf08b237, v83 :: v_dual_mul_f32 v82, 0xbf08b237, v84
	v_dual_mul_f32 v83, 0x3f5ff5aa, v58 :: v_dual_mul_f32 v84, 0x3f5ff5aa, v64
	v_add_f32_e32 v62, v56, v76
	v_fma_f32 v67, 0x3f3bfb3b, v79, -v77
	v_fmamk_f32 v77, v85, 0x3eae86e6, v81
	v_fma_f32 v65, 0xbf3bfb3b, v79, -v65
	v_fma_f32 v58, 0x3f5ff5aa, v58, -v81
	;; [unrolled: 1-line block ×3, first 2 shown]
	v_dual_fmamk_f32 v64, v75, 0xbf955555, v61 :: v_dual_fmamk_f32 v75, v76, 0xbf955555, v62
	v_fmamk_f32 v56, v68, 0x3d64c772, v66
	v_fma_f32 v68, 0x3f3bfb3b, v80, -v78
	v_fma_f32 v66, 0xbf3bfb3b, v80, -v66
	v_fmamk_f32 v78, v86, 0x3eae86e6, v82
	v_fma_f32 v80, 0xbeae86e6, v85, -v83
	v_fma_f32 v81, 0xbeae86e6, v86, -v84
	v_fmac_f32_e32 v77, 0x3ee1c552, v57
	v_dual_fmac_f32 v58, 0x3ee1c552, v57 :: v_dual_fmac_f32 v79, 0x3ee1c552, v63
	s_delay_alu instid0(VALU_DEP_3) | instskip(SKIP_4) | instid1(VALU_DEP_3)
	v_dual_fmac_f32 v80, 0x3ee1c552, v57 :: v_dual_fmac_f32 v81, 0x3ee1c552, v63
	v_add_f32_e32 v57, v55, v64
	v_dual_add_f32 v55, v67, v64 :: v_dual_fmac_f32 v78, 0x3ee1c552, v63
	v_add_f32_e32 v82, v56, v75
	v_dual_add_f32 v56, v65, v64 :: v_dual_add_f32 v83, v66, v75
	v_dual_add_f32 v76, v68, v75 :: v_dual_add_f32 v63, v78, v57
	s_delay_alu instid0(VALU_DEP_3) | instskip(NEXT) | instid1(VALU_DEP_3)
	v_dual_sub_f32 v64, v82, v77 :: v_dual_sub_f32 v67, v55, v79
	v_add_f32_e32 v65, v81, v56
	s_delay_alu instid0(VALU_DEP_4) | instskip(NEXT) | instid1(VALU_DEP_4)
	v_sub_f32_e32 v66, v83, v80
	v_dual_add_f32 v68, v58, v76 :: v_dual_add_f32 v75, v79, v55
	v_sub_f32_e32 v76, v76, v58
	v_sub_f32_e32 v55, v56, v81
	v_dual_add_f32 v56, v80, v83 :: v_dual_sub_f32 v57, v57, v78
	v_add_f32_e32 v58, v77, v82
	ds_store_2addr_b64 v69, v[61:62], v[63:64] offset1:245
	ds_store_2addr_b64 v60, v[65:66], v[67:68] offset0:10 offset1:255
	ds_store_2addr_b64 v59, v[75:76], v[55:56] offset0:4 offset1:249
	ds_store_b64 v69, v[57:58] offset:11760
	global_wb scope:SCOPE_SE
	s_wait_dscnt 0x0
	s_barrier_signal -1
	s_barrier_wait -1
	global_inv scope:SCOPE_SE
	s_clause 0x4
	global_load_b64 v[59:60], v[37:38], off offset:13720
	global_load_b64 v[61:62], v69, s[0:1] offset:2744
	global_load_b64 v[63:64], v69, s[0:1] offset:5488
	;; [unrolled: 1-line block ×4, first 2 shown]
	ds_load_b64 v[75:76], v69
	ds_load_b64 v[77:78], v69 offset:2744
	ds_load_b64 v[79:80], v69 offset:5488
	;; [unrolled: 1-line block ×4, first 2 shown]
	s_wait_loadcnt_dscnt 0x404
	v_mul_f32_e32 v85, v76, v60
	s_wait_loadcnt_dscnt 0x303
	v_dual_mul_f32 v86, v75, v60 :: v_dual_mul_f32 v87, v78, v62
	v_mul_f32_e32 v60, v77, v62
	s_wait_loadcnt_dscnt 0x101
	v_dual_mul_f32 v88, v80, v64 :: v_dual_mul_f32 v89, v82, v66
	v_mul_f32_e32 v62, v79, v64
	v_mul_f32_e32 v64, v81, v66
	s_wait_loadcnt_dscnt 0x0
	v_mul_f32_e32 v90, v84, v68
	v_mul_f32_e32 v66, v83, v68
	v_fma_f32 v85, v75, v59, -v85
	v_fmac_f32_e32 v86, v76, v59
	v_fma_f32 v59, v77, v61, -v87
	v_fmac_f32_e32 v60, v78, v61
	;; [unrolled: 2-line block ×5, first 2 shown]
	ds_store_b64 v69, v[85:86]
	ds_store_b64 v69, v[59:60] offset:2744
	ds_store_b64 v69, v[61:62] offset:5488
	;; [unrolled: 1-line block ×4, first 2 shown]
	s_and_saveexec_b32 s2, vcc_lo
	s_cbranch_execz .LBB0_9
; %bb.8:
	s_wait_alu 0xfffe
	v_add_co_u32 v59, s0, s0, v69
	s_wait_alu 0xf1ff
	v_add_co_ci_u32_e64 v60, null, s1, 0, s0
	s_clause 0x4
	global_load_b64 v[61:62], v[59:60], off offset:1960
	global_load_b64 v[63:64], v[59:60], off offset:4704
	;; [unrolled: 1-line block ×5, first 2 shown]
	ds_load_b64 v[75:76], v69 offset:1960
	ds_load_b64 v[77:78], v69 offset:4704
	;; [unrolled: 1-line block ×5, first 2 shown]
	s_wait_loadcnt_dscnt 0x404
	v_mul_f32_e32 v85, v76, v62
	s_wait_loadcnt_dscnt 0x303
	v_dual_mul_f32 v86, v75, v62 :: v_dual_mul_f32 v87, v78, v64
	v_mul_f32_e32 v62, v77, v64
	s_wait_loadcnt_dscnt 0x101
	v_dual_mul_f32 v88, v80, v66 :: v_dual_mul_f32 v89, v82, v68
	v_mul_f32_e32 v64, v79, v66
	v_mul_f32_e32 v66, v81, v68
	s_wait_loadcnt_dscnt 0x0
	v_mul_f32_e32 v90, v84, v60
	v_mul_f32_e32 v68, v83, v60
	v_fma_f32 v85, v75, v61, -v85
	v_fmac_f32_e32 v86, v76, v61
	v_fma_f32 v61, v77, v63, -v87
	v_fmac_f32_e32 v62, v78, v63
	;; [unrolled: 2-line block ×5, first 2 shown]
	ds_store_b64 v69, v[85:86] offset:1960
	ds_store_b64 v69, v[61:62] offset:4704
	;; [unrolled: 1-line block ×5, first 2 shown]
.LBB0_9:
	s_wait_alu 0xfffe
	s_or_b32 exec_lo, exec_lo, s2
	global_wb scope:SCOPE_SE
	s_wait_dscnt 0x0
	s_barrier_signal -1
	s_barrier_wait -1
	global_inv scope:SCOPE_SE
	ds_load_b64 v[59:60], v69
	ds_load_b64 v[63:64], v69 offset:2744
	ds_load_b64 v[65:66], v69 offset:5488
	;; [unrolled: 1-line block ×4, first 2 shown]
	s_and_saveexec_b32 s0, vcc_lo
	s_cbranch_execz .LBB0_11
; %bb.10:
	ds_load_b64 v[55:56], v69 offset:1960
	ds_load_b64 v[57:58], v69 offset:4704
	;; [unrolled: 1-line block ×5, first 2 shown]
.LBB0_11:
	s_wait_alu 0xfffe
	s_or_b32 exec_lo, exec_lo, s0
	s_wait_dscnt 0x0
	v_dual_add_f32 v75, v65, v67 :: v_dual_sub_f32 v78, v64, v62
	v_dual_sub_f32 v80, v66, v68 :: v_dual_sub_f32 v79, v63, v65
	v_dual_sub_f32 v81, v61, v67 :: v_dual_add_f32 v82, v63, v61
	s_delay_alu instid0(VALU_DEP_3)
	v_fma_f32 v75, -0.5, v75, v59
	v_add_f32_e32 v76, v59, v63
	global_wb scope:SCOPE_SE
	s_barrier_signal -1
	v_fma_f32 v59, -0.5, v82, v59
	v_dual_fmamk_f32 v77, v78, 0xbf737871, v75 :: v_dual_add_f32 v76, v76, v65
	v_fmac_f32_e32 v75, 0x3f737871, v78
	v_dual_add_f32 v83, v79, v81 :: v_dual_add_f32 v82, v66, v68
	s_delay_alu instid0(VALU_DEP_4) | instskip(NEXT) | instid1(VALU_DEP_4)
	v_fmamk_f32 v79, v80, 0x3f737871, v59
	v_dual_add_f32 v76, v76, v67 :: v_dual_fmac_f32 v77, 0xbf167918, v80
	s_delay_alu instid0(VALU_DEP_4) | instskip(NEXT) | instid1(VALU_DEP_3)
	v_dual_sub_f32 v84, v67, v61 :: v_dual_fmac_f32 v75, 0x3f167918, v80
	v_fmac_f32_e32 v79, 0xbf167918, v78
	s_delay_alu instid0(VALU_DEP_3) | instskip(NEXT) | instid1(VALU_DEP_4)
	v_add_f32_e32 v81, v76, v61
	v_fmac_f32_e32 v77, 0x3e9e377a, v83
	v_fma_f32 v76, -0.5, v82, v60
	v_sub_f32_e32 v61, v63, v61
	v_fmac_f32_e32 v59, 0xbf737871, v80
	v_add_f32_e32 v80, v60, v64
	v_add_f32_e32 v82, v64, v62
	s_barrier_wait -1
	global_inv scope:SCOPE_SE
	v_dual_add_f32 v80, v80, v66 :: v_dual_fmac_f32 v75, 0x3e9e377a, v83
	v_dual_sub_f32 v83, v65, v63 :: v_dual_fmac_f32 v60, -0.5, v82
	v_sub_f32_e32 v65, v65, v67
	v_dual_sub_f32 v67, v64, v66 :: v_dual_sub_f32 v82, v62, v68
	v_fmac_f32_e32 v59, 0x3f167918, v78
	v_fmamk_f32 v78, v61, 0x3f737871, v76
	v_sub_f32_e32 v64, v66, v64
	v_dual_sub_f32 v66, v68, v62 :: v_dual_add_f32 v63, v83, v84
	v_fmac_f32_e32 v76, 0xbf737871, v61
	s_delay_alu instid0(VALU_DEP_4) | instskip(NEXT) | instid1(VALU_DEP_3)
	v_fmac_f32_e32 v78, 0x3f167918, v65
	v_dual_add_f32 v64, v64, v66 :: v_dual_fmac_f32 v79, 0x3e9e377a, v63
	v_fmac_f32_e32 v59, 0x3e9e377a, v63
	v_dual_add_f32 v63, v80, v68 :: v_dual_fmamk_f32 v80, v65, 0xbf737871, v60
	v_dual_fmac_f32 v60, 0x3f737871, v65 :: v_dual_add_f32 v67, v67, v82
	v_fmac_f32_e32 v76, 0xbf167918, v65
	s_delay_alu instid0(VALU_DEP_3) | instskip(NEXT) | instid1(VALU_DEP_4)
	v_add_f32_e32 v82, v63, v62
	v_fmac_f32_e32 v80, 0x3f167918, v61
	s_delay_alu instid0(VALU_DEP_4) | instskip(SKIP_2) | instid1(VALU_DEP_4)
	v_fmac_f32_e32 v60, 0xbf167918, v61
	v_fmac_f32_e32 v78, 0x3e9e377a, v67
	;; [unrolled: 1-line block ×4, first 2 shown]
	s_delay_alu instid0(VALU_DEP_4)
	v_fmac_f32_e32 v60, 0x3e9e377a, v64
	ds_store_2addr_b64 v73, v[81:82], v[77:78] offset1:1
	ds_store_2addr_b64 v73, v[79:80], v[59:60] offset0:2 offset1:3
	ds_store_b64 v73, v[75:76] offset:32
	s_and_saveexec_b32 s0, vcc_lo
	s_cbranch_execz .LBB0_13
; %bb.12:
	v_dual_sub_f32 v65, v53, v51 :: v_dual_sub_f32 v66, v58, v54
	v_add_f32_e32 v59, v58, v50
	v_dual_sub_f32 v63, v52, v50 :: v_dual_add_f32 v62, v54, v52
	v_add_f32_e32 v68, v56, v58
	s_delay_alu instid0(VALU_DEP_3) | instskip(SKIP_3) | instid1(VALU_DEP_4)
	v_fma_f32 v60, -0.5, v59, v56
	v_sub_f32_e32 v61, v54, v58
	v_sub_f32_e32 v59, v57, v49
	v_fma_f32 v62, -0.5, v62, v56
	v_dual_sub_f32 v67, v50, v52 :: v_dual_fmamk_f32 v64, v65, 0x3f737871, v60
	v_fmac_f32_e32 v60, 0xbf737871, v65
	s_delay_alu instid0(VALU_DEP_3) | instskip(NEXT) | instid1(VALU_DEP_3)
	v_dual_fmamk_f32 v56, v59, 0xbf737871, v62 :: v_dual_add_f32 v61, v61, v63
	v_fmac_f32_e32 v64, 0xbf167918, v59
	v_fmac_f32_e32 v62, 0x3f737871, v59
	s_delay_alu instid0(VALU_DEP_4) | instskip(NEXT) | instid1(VALU_DEP_4)
	v_fmac_f32_e32 v60, 0x3f167918, v59
	v_dual_fmac_f32 v56, 0xbf167918, v65 :: v_dual_add_f32 v59, v68, v54
	s_delay_alu instid0(VALU_DEP_4)
	v_dual_add_f32 v63, v66, v67 :: v_dual_fmac_f32 v64, 0x3e9e377a, v61
	v_sub_f32_e32 v54, v54, v52
	v_sub_f32_e32 v66, v51, v49
	v_fmac_f32_e32 v60, 0x3e9e377a, v61
	v_add_f32_e32 v61, v57, v49
	v_fmac_f32_e32 v62, 0x3f167918, v65
	v_dual_fmac_f32 v56, 0x3e9e377a, v63 :: v_dual_sub_f32 v65, v53, v57
	s_delay_alu instid0(VALU_DEP_2) | instskip(NEXT) | instid1(VALU_DEP_4)
	v_dual_fmac_f32 v62, 0x3e9e377a, v63 :: v_dual_add_f32 v63, v59, v52
	v_fma_f32 v59, -0.5, v61, v55
	v_add_f32_e32 v61, v53, v51
	s_delay_alu instid0(VALU_DEP_1) | instskip(NEXT) | instid1(VALU_DEP_4)
	v_fma_f32 v61, -0.5, v61, v55
	v_add_f32_e32 v52, v63, v50
	v_sub_f32_e32 v50, v58, v50
	v_add_f32_e32 v58, v55, v57
	v_sub_f32_e32 v57, v57, v53
	s_delay_alu instid0(VALU_DEP_3)
	v_fmamk_f32 v55, v50, 0x3f737871, v61
	v_fmac_f32_e32 v61, 0xbf737871, v50
	v_fmamk_f32 v63, v54, 0xbf737871, v59
	v_add_f32_e32 v65, v65, v66
	v_dual_sub_f32 v66, v49, v51 :: v_dual_add_f32 v53, v58, v53
	v_fmac_f32_e32 v59, 0x3f737871, v54
	v_fmac_f32_e32 v61, 0xbf167918, v54
	;; [unrolled: 1-line block ×3, first 2 shown]
	s_delay_alu instid0(VALU_DEP_4) | instskip(SKIP_3) | instid1(VALU_DEP_4)
	v_add_f32_e32 v57, v57, v66
	v_add_f32_e32 v51, v53, v51
	v_fmac_f32_e32 v63, 0x3f167918, v50
	v_fmac_f32_e32 v59, 0xbf167918, v50
	;; [unrolled: 1-line block ×3, first 2 shown]
	s_delay_alu instid0(VALU_DEP_4)
	v_add_f32_e32 v51, v51, v49
	v_lshlrev_b32_e32 v49, 3, v71
	v_fmac_f32_e32 v63, 0x3e9e377a, v65
	v_fmac_f32_e32 v59, 0x3e9e377a, v65
	;; [unrolled: 1-line block ×3, first 2 shown]
	ds_store_2addr_b64 v49, v[51:52], v[61:62] offset1:1
	ds_store_2addr_b64 v49, v[59:60], v[63:64] offset0:2 offset1:3
	ds_store_b64 v49, v[55:56] offset:32
.LBB0_13:
	s_wait_alu 0xfffe
	s_or_b32 exec_lo, exec_lo, s0
	global_wb scope:SCOPE_SE
	s_wait_dscnt 0x0
	s_barrier_signal -1
	s_barrier_wait -1
	global_inv scope:SCOPE_SE
	ds_load_2addr_b64 v[49:52], v69 offset1:245
	ds_load_b64 v[61:62], v69 offset:11760
	v_add_nc_u32_e32 v63, 0xf00, v69
	v_add_nc_u32_e32 v64, 0x1e80, v69
	s_mov_b32 s2, 0xde1d8e4
	s_mov_b32 s3, 0x3f431b51
	s_wait_dscnt 0x0
	v_dual_mul_f32 v65, v9, v52 :: v_dual_mul_f32 v66, v3, v62
	ds_load_2addr_b64 v[53:56], v63 offset0:10 offset1:255
	ds_load_2addr_b64 v[57:60], v64 offset0:4 offset1:249
	v_mul_f32_e32 v9, v9, v51
	global_wb scope:SCOPE_SE
	s_wait_dscnt 0x0
	v_dual_fmac_f32 v65, v8, v51 :: v_dual_fmac_f32 v66, v2, v61
	s_barrier_signal -1
	v_fma_f32 v8, v8, v52, -v9
	v_mul_f32_e32 v3, v3, v61
	s_barrier_wait -1
	global_inv scope:SCOPE_SE
	v_fma_f32 v2, v2, v62, -v3
	v_mul_f32_e32 v51, v5, v56
	v_mul_f32_e32 v67, v1, v60
	v_dual_mul_f32 v1, v1, v59 :: v_dual_mul_f32 v52, v7, v58
	v_mul_f32_e32 v9, v11, v54
	v_mul_f32_e32 v11, v11, v53
	s_delay_alu instid0(VALU_DEP_4) | instskip(NEXT) | instid1(VALU_DEP_4)
	v_fmac_f32_e32 v67, v0, v59
	v_fma_f32 v0, v0, v60, -v1
	v_mul_f32_e32 v5, v5, v55
	v_dual_fmac_f32 v51, v4, v55 :: v_dual_fmac_f32 v52, v6, v57
	s_delay_alu instid0(VALU_DEP_2) | instskip(SKIP_2) | instid1(VALU_DEP_1)
	v_fma_f32 v4, v4, v56, -v5
	v_fmac_f32_e32 v9, v10, v53
	v_mul_f32_e32 v7, v7, v57
	v_fma_f32 v5, v6, v58, -v7
	v_add_f32_e32 v6, v8, v2
	v_sub_f32_e32 v2, v8, v2
	v_fma_f32 v3, v10, v54, -v11
	s_delay_alu instid0(VALU_DEP_4) | instskip(NEXT) | instid1(VALU_DEP_2)
	v_dual_add_f32 v11, v4, v5 :: v_dual_sub_f32 v4, v5, v4
	v_dual_add_f32 v1, v65, v66 :: v_dual_add_f32 v10, v3, v0
	v_dual_sub_f32 v0, v3, v0 :: v_dual_sub_f32 v7, v65, v66
	v_add_f32_e32 v8, v9, v67
	s_delay_alu instid0(VALU_DEP_3) | instskip(NEXT) | instid1(VALU_DEP_3)
	v_sub_f32_e32 v54, v10, v6
	v_add_f32_e32 v56, v4, v0
	v_add_f32_e32 v3, v51, v52
	s_delay_alu instid0(VALU_DEP_4)
	v_add_f32_e32 v5, v8, v1
	v_sub_f32_e32 v53, v8, v1
	v_sub_f32_e32 v58, v4, v0
	;; [unrolled: 1-line block ×3, first 2 shown]
	v_dual_sub_f32 v8, v3, v8 :: v_dual_sub_f32 v51, v52, v51
	v_add_f32_e32 v52, v10, v6
	v_sub_f32_e32 v6, v6, v11
	v_dual_sub_f32 v10, v11, v10 :: v_dual_sub_f32 v9, v9, v67
	v_sub_f32_e32 v55, v1, v3
	v_add_f32_e32 v3, v3, v5
	v_add_f32_e32 v5, v11, v52
	v_sub_f32_e32 v11, v0, v2
	v_add_f32_e32 v2, v56, v2
	v_dual_mul_f32 v6, 0x3f4a47b2, v6 :: v_dual_add_f32 v1, v51, v9
	v_mul_f32_e32 v56, 0x3f08b237, v58
	v_dual_mul_f32 v52, 0x3d64c772, v10 :: v_dual_sub_f32 v57, v51, v9
	v_mul_f32_e32 v58, 0xbf5ff5aa, v11
	s_delay_alu instid0(VALU_DEP_4) | instskip(NEXT) | instid1(VALU_DEP_3)
	v_dual_sub_f32 v9, v9, v7 :: v_dual_fmamk_f32 v10, v10, 0x3d64c772, v6
	v_fma_f32 v52, 0x3f3bfb3b, v54, -v52
	v_fma_f32 v6, 0xbf3bfb3b, v54, -v6
	v_fmamk_f32 v54, v4, 0xbeae86e6, v56
	v_add_f32_e32 v0, v49, v3
	v_mul_f32_e32 v49, 0x3f4a47b2, v55
	v_sub_f32_e32 v51, v7, v51
	v_add_f32_e32 v7, v1, v7
	v_dual_add_f32 v1, v50, v5 :: v_dual_fmac_f32 v54, 0xbee1c552, v2
	v_mul_f32_e32 v50, 0x3d64c772, v8
	v_fmamk_f32 v3, v3, 0xbf955555, v0
	v_fmamk_f32 v8, v8, 0x3d64c772, v49
	v_fma_f32 v11, 0xbf5ff5aa, v11, -v56
	s_delay_alu instid0(VALU_DEP_4) | instskip(NEXT) | instid1(VALU_DEP_3)
	v_fma_f32 v50, 0x3f3bfb3b, v53, -v50
	v_dual_add_f32 v56, v8, v3 :: v_dual_mul_f32 v55, 0x3f08b237, v57
	s_delay_alu instid0(VALU_DEP_2) | instskip(NEXT) | instid1(VALU_DEP_4)
	v_dual_fmamk_f32 v5, v5, 0xbf955555, v1 :: v_dual_add_f32 v8, v50, v3
	v_fmac_f32_e32 v11, 0xbee1c552, v2
	v_mul_f32_e32 v57, 0xbf5ff5aa, v9
	s_delay_alu instid0(VALU_DEP_4) | instskip(NEXT) | instid1(VALU_DEP_4)
	v_fma_f32 v9, 0xbf5ff5aa, v9, -v55
	v_add_f32_e32 v50, v6, v5
	v_fma_f32 v49, 0xbf3bfb3b, v53, -v49
	v_dual_sub_f32 v6, v8, v11 :: v_dual_fmamk_f32 v53, v51, 0xbeae86e6, v55
	v_fma_f32 v55, 0x3eae86e6, v4, -v58
	v_fma_f32 v51, 0x3eae86e6, v51, -v57
	s_delay_alu instid0(VALU_DEP_4) | instskip(NEXT) | instid1(VALU_DEP_3)
	v_dual_add_f32 v49, v49, v3 :: v_dual_add_f32 v8, v11, v8
	v_dual_fmac_f32 v55, 0xbee1c552, v2 :: v_dual_add_f32 v2, v54, v56
	s_delay_alu instid0(VALU_DEP_1) | instskip(SKIP_4) | instid1(VALU_DEP_3)
	v_add_f32_e32 v4, v55, v49
	v_add_f32_e32 v57, v10, v5
	v_dual_add_f32 v10, v52, v5 :: v_dual_fmac_f32 v53, 0xbee1c552, v7
	v_fmac_f32_e32 v9, 0xbee1c552, v7
	v_fmac_f32_e32 v51, 0xbee1c552, v7
	v_sub_f32_e32 v3, v57, v53
	s_delay_alu instid0(VALU_DEP_2)
	v_sub_f32_e32 v5, v50, v51
	v_dual_add_f32 v11, v51, v50 :: v_dual_add_f32 v50, v53, v57
	v_add_f32_e32 v7, v9, v10
	v_dual_sub_f32 v9, v10, v9 :: v_dual_sub_f32 v10, v49, v55
	v_sub_f32_e32 v49, v56, v54
	ds_store_2addr_b64 v72, v[0:1], v[2:3] offset1:5
	ds_store_2addr_b64 v72, v[4:5], v[6:7] offset0:10 offset1:15
	ds_store_2addr_b64 v72, v[8:9], v[10:11] offset0:20 offset1:25
	ds_store_b64 v72, v[49:50] offset:240
	global_wb scope:SCOPE_SE
	s_wait_dscnt 0x0
	s_barrier_signal -1
	s_barrier_wait -1
	global_inv scope:SCOPE_SE
	ds_load_2addr_b64 v[0:3], v69 offset1:245
	ds_load_2addr_b64 v[4:7], v63 offset0:10 offset1:255
	ds_load_2addr_b64 v[8:11], v64 offset0:4 offset1:249
	ds_load_b64 v[49:50], v69 offset:11760
	global_wb scope:SCOPE_SE
	s_wait_dscnt 0x0
	s_barrier_signal -1
	s_barrier_wait -1
	global_inv scope:SCOPE_SE
	v_mul_f32_e32 v51, v21, v3
	v_mul_f32_e32 v21, v21, v2
	s_delay_alu instid0(VALU_DEP_2) | instskip(NEXT) | instid1(VALU_DEP_2)
	v_fmac_f32_e32 v51, v20, v2
	v_fma_f32 v2, v20, v3, -v21
	v_mul_f32_e32 v3, v23, v5
	v_dual_mul_f32 v20, v23, v4 :: v_dual_mul_f32 v21, v17, v7
	v_mul_f32_e32 v17, v17, v6
	v_mul_f32_e32 v23, v19, v9
	s_delay_alu instid0(VALU_DEP_4) | instskip(NEXT) | instid1(VALU_DEP_4)
	v_fmac_f32_e32 v3, v22, v4
	v_fma_f32 v4, v22, v5, -v20
	v_fmac_f32_e32 v21, v16, v6
	v_fma_f32 v5, v16, v7, -v17
	v_dual_fmac_f32 v23, v18, v8 :: v_dual_mul_f32 v6, v15, v50
	v_mul_f32_e32 v7, v15, v49
	v_dual_mul_f32 v8, v19, v8 :: v_dual_mul_f32 v15, v13, v11
	s_delay_alu instid0(VALU_DEP_3) | instskip(NEXT) | instid1(VALU_DEP_3)
	v_dual_mul_f32 v13, v13, v10 :: v_dual_fmac_f32 v6, v14, v49
	v_fma_f32 v7, v14, v50, -v7
	s_delay_alu instid0(VALU_DEP_3) | instskip(NEXT) | instid1(VALU_DEP_4)
	v_fma_f32 v8, v18, v9, -v8
	v_fmac_f32_e32 v15, v12, v10
	s_delay_alu instid0(VALU_DEP_4) | instskip(NEXT) | instid1(VALU_DEP_4)
	v_fma_f32 v9, v12, v11, -v13
	v_dual_sub_f32 v14, v23, v21 :: v_dual_add_f32 v11, v2, v7
	s_delay_alu instid0(VALU_DEP_4) | instskip(SKIP_1) | instid1(VALU_DEP_4)
	v_add_f32_e32 v13, v5, v8
	v_sub_f32_e32 v5, v8, v5
	v_add_f32_e32 v12, v4, v9
	v_sub_f32_e32 v4, v4, v9
	v_sub_f32_e32 v2, v2, v7
	v_add_f32_e32 v9, v21, v23
	s_delay_alu instid0(VALU_DEP_3) | instskip(SKIP_1) | instid1(VALU_DEP_4)
	v_add_f32_e32 v19, v5, v4
	v_sub_f32_e32 v21, v5, v4
	v_dual_sub_f32 v5, v2, v5 :: v_dual_sub_f32 v4, v4, v2
	s_delay_alu instid0(VALU_DEP_3)
	v_add_f32_e32 v2, v19, v2
	v_add_f32_e32 v7, v3, v15
	v_sub_f32_e32 v3, v3, v15
	v_add_f32_e32 v15, v12, v11
	v_dual_sub_f32 v17, v12, v11 :: v_dual_sub_f32 v12, v13, v12
	v_add_f32_e32 v10, v51, v6
	v_dual_sub_f32 v6, v51, v6 :: v_dual_mul_f32 v19, 0x3f08b237, v21
	s_delay_alu instid0(VALU_DEP_2) | instskip(SKIP_2) | instid1(VALU_DEP_3)
	v_dual_mul_f32 v21, 0xbf5ff5aa, v4 :: v_dual_add_f32 v8, v7, v10
	v_sub_f32_e32 v16, v7, v10
	v_dual_sub_f32 v10, v10, v9 :: v_dual_sub_f32 v7, v9, v7
	v_add_f32_e32 v8, v9, v8
	v_add_f32_e32 v9, v13, v15
	v_mul_f32_e32 v15, 0x3d64c772, v12
	s_delay_alu instid0(VALU_DEP_4) | instskip(NEXT) | instid1(VALU_DEP_3)
	v_mul_f32_e32 v10, 0x3f4a47b2, v10
	v_dual_add_f32 v0, v0, v8 :: v_dual_add_f32 v1, v1, v9
	s_delay_alu instid0(VALU_DEP_1) | instskip(NEXT) | instid1(VALU_DEP_2)
	v_dual_fmamk_f32 v8, v8, 0xbf955555, v0 :: v_dual_sub_f32 v11, v11, v13
	v_fmamk_f32 v9, v9, 0xbf955555, v1
	v_mul_f32_e32 v13, 0x3d64c772, v7
	v_fmamk_f32 v7, v7, 0x3d64c772, v10
	v_fma_f32 v10, 0xbf3bfb3b, v16, -v10
	v_mul_f32_e32 v11, 0x3f4a47b2, v11
	s_delay_alu instid0(VALU_DEP_4) | instskip(NEXT) | instid1(VALU_DEP_3)
	v_fma_f32 v13, 0x3f3bfb3b, v16, -v13
	v_add_f32_e32 v10, v10, v8
	s_delay_alu instid0(VALU_DEP_3) | instskip(NEXT) | instid1(VALU_DEP_1)
	v_fmamk_f32 v12, v12, 0x3d64c772, v11
	v_add_f32_e32 v22, v12, v9
	v_add_f32_e32 v18, v14, v3
	v_dual_sub_f32 v20, v14, v3 :: v_dual_sub_f32 v3, v3, v6
	v_sub_f32_e32 v14, v6, v14
	v_add_f32_e32 v12, v13, v8
	s_delay_alu instid0(VALU_DEP_4) | instskip(NEXT) | instid1(VALU_DEP_4)
	v_add_f32_e32 v6, v18, v6
	v_mul_f32_e32 v18, 0x3f08b237, v20
	v_mul_f32_e32 v20, 0xbf5ff5aa, v3
	s_delay_alu instid0(VALU_DEP_2) | instskip(NEXT) | instid1(VALU_DEP_2)
	v_fmamk_f32 v16, v14, 0xbeae86e6, v18
	v_fma_f32 v14, 0x3eae86e6, v14, -v20
	v_fma_f32 v20, 0x3eae86e6, v5, -v21
	s_delay_alu instid0(VALU_DEP_3) | instskip(NEXT) | instid1(VALU_DEP_3)
	v_dual_add_f32 v21, v7, v8 :: v_dual_fmac_f32 v16, 0xbee1c552, v6
	v_fmac_f32_e32 v14, 0xbee1c552, v6
	s_delay_alu instid0(VALU_DEP_3) | instskip(SKIP_4) | instid1(VALU_DEP_4)
	v_fmac_f32_e32 v20, 0xbee1c552, v2
	v_fma_f32 v15, 0x3f3bfb3b, v17, -v15
	v_fma_f32 v11, 0xbf3bfb3b, v17, -v11
	v_fmamk_f32 v17, v5, 0xbeae86e6, v19
	v_fma_f32 v19, 0xbf5ff5aa, v4, -v19
	v_dual_add_f32 v4, v20, v10 :: v_dual_add_f32 v13, v15, v9
	s_delay_alu instid0(VALU_DEP_4) | instskip(NEXT) | instid1(VALU_DEP_4)
	v_add_f32_e32 v11, v11, v9
	v_fmac_f32_e32 v17, 0xbee1c552, v2
	s_delay_alu instid0(VALU_DEP_4) | instskip(NEXT) | instid1(VALU_DEP_2)
	v_dual_fmac_f32 v19, 0xbee1c552, v2 :: v_dual_sub_f32 v10, v10, v20
	v_dual_sub_f32 v5, v11, v14 :: v_dual_add_f32 v2, v17, v21
	v_fma_f32 v18, 0xbf5ff5aa, v3, -v18
	v_sub_f32_e32 v3, v22, v16
	s_delay_alu instid0(VALU_DEP_4) | instskip(NEXT) | instid1(VALU_DEP_3)
	v_dual_add_f32 v8, v19, v12 :: v_dual_add_f32 v11, v14, v11
	v_fmac_f32_e32 v18, 0xbee1c552, v6
	v_sub_f32_e32 v6, v12, v19
	v_sub_f32_e32 v12, v21, v17
	s_delay_alu instid0(VALU_DEP_3)
	v_add_f32_e32 v7, v18, v13
	v_sub_f32_e32 v9, v13, v18
	v_add_f32_e32 v13, v16, v22
	ds_store_2addr_b64 v74, v[0:1], v[2:3] offset1:35
	ds_store_2addr_b64 v74, v[4:5], v[6:7] offset0:70 offset1:105
	ds_store_2addr_b64 v74, v[8:9], v[10:11] offset0:140 offset1:175
	ds_store_b64 v74, v[12:13] offset:1680
	global_wb scope:SCOPE_SE
	s_wait_dscnt 0x0
	s_barrier_signal -1
	s_barrier_wait -1
	global_inv scope:SCOPE_SE
	ds_load_2addr_b64 v[0:3], v69 offset1:245
	ds_load_2addr_b64 v[4:7], v63 offset0:10 offset1:255
	ds_load_2addr_b64 v[8:11], v64 offset0:4 offset1:249
	ds_load_b64 v[12:13], v69 offset:11760
	s_wait_dscnt 0x3
	v_mul_f32_e32 v14, v33, v3
	v_mul_f32_e32 v15, v33, v2
	s_wait_dscnt 0x2
	v_mul_f32_e32 v16, v29, v7
	s_wait_dscnt 0x1
	v_dual_mul_f32 v17, v29, v6 :: v_dual_mul_f32 v18, v31, v9
	v_fmac_f32_e32 v14, v32, v2
	v_fma_f32 v2, v32, v3, -v15
	v_mul_f32_e32 v3, v35, v5
	v_dual_mul_f32 v15, v35, v4 :: v_dual_fmac_f32 v16, v28, v6
	s_wait_dscnt 0x0
	v_mul_f32_e32 v6, v27, v13
	v_fmac_f32_e32 v18, v30, v8
	v_fmac_f32_e32 v3, v34, v4
	v_fma_f32 v4, v34, v5, -v15
	v_fma_f32 v5, v28, v7, -v17
	v_dual_mul_f32 v8, v31, v8 :: v_dual_mul_f32 v15, v25, v11
	v_dual_mul_f32 v17, v25, v10 :: v_dual_fmac_f32 v6, v26, v12
	s_delay_alu instid0(VALU_DEP_2) | instskip(NEXT) | instid1(VALU_DEP_3)
	v_fma_f32 v8, v30, v9, -v8
	v_fmac_f32_e32 v15, v24, v10
	s_delay_alu instid0(VALU_DEP_3) | instskip(NEXT) | instid1(VALU_DEP_4)
	v_fma_f32 v9, v24, v11, -v17
	v_add_f32_e32 v10, v14, v6
	v_dual_sub_f32 v6, v14, v6 :: v_dual_mul_f32 v7, v27, v12
	v_sub_f32_e32 v14, v18, v16
	s_delay_alu instid0(VALU_DEP_4)
	v_add_f32_e32 v12, v4, v9
	v_sub_f32_e32 v4, v4, v9
	v_add_f32_e32 v9, v16, v18
	v_fma_f32 v7, v26, v13, -v7
	v_add_f32_e32 v13, v5, v8
	v_sub_f32_e32 v5, v8, v5
	s_delay_alu instid0(VALU_DEP_3) | instskip(NEXT) | instid1(VALU_DEP_2)
	v_add_f32_e32 v11, v2, v7
	v_dual_sub_f32 v2, v2, v7 :: v_dual_add_f32 v19, v5, v4
	v_sub_f32_e32 v21, v5, v4
	s_delay_alu instid0(VALU_DEP_2) | instskip(NEXT) | instid1(VALU_DEP_3)
	v_dual_sub_f32 v5, v2, v5 :: v_dual_sub_f32 v4, v4, v2
	v_add_f32_e32 v2, v19, v2
	v_add_f32_e32 v7, v3, v15
	s_delay_alu instid0(VALU_DEP_4) | instskip(NEXT) | instid1(VALU_DEP_2)
	v_mul_f32_e32 v19, 0x3f08b237, v21
	v_dual_mul_f32 v21, 0xbf5ff5aa, v4 :: v_dual_add_f32 v8, v7, v10
	v_sub_f32_e32 v16, v7, v10
	s_delay_alu instid0(VALU_DEP_2) | instskip(NEXT) | instid1(VALU_DEP_1)
	v_dual_add_f32 v8, v9, v8 :: v_dual_sub_f32 v3, v3, v15
	v_add_f32_e32 v0, v0, v8
	s_delay_alu instid0(VALU_DEP_2) | instskip(SKIP_2) | instid1(VALU_DEP_4)
	v_add_f32_e32 v18, v14, v3
	v_dual_sub_f32 v20, v14, v3 :: v_dual_sub_f32 v3, v3, v6
	v_sub_f32_e32 v14, v6, v14
	v_fmamk_f32 v8, v8, 0xbf955555, v0
	s_delay_alu instid0(VALU_DEP_4) | instskip(NEXT) | instid1(VALU_DEP_4)
	v_dual_add_f32 v15, v12, v11 :: v_dual_add_f32 v6, v18, v6
	v_mul_f32_e32 v18, 0x3f08b237, v20
	v_mul_f32_e32 v20, 0xbf5ff5aa, v3
	v_dual_sub_f32 v10, v10, v9 :: v_dual_sub_f32 v7, v9, v7
	v_sub_f32_e32 v17, v12, v11
	v_dual_sub_f32 v11, v11, v13 :: v_dual_sub_f32 v12, v13, v12
	s_delay_alu instid0(VALU_DEP_3) | instskip(NEXT) | instid1(VALU_DEP_4)
	v_dual_add_f32 v9, v13, v15 :: v_dual_mul_f32 v10, 0x3f4a47b2, v10
	v_mul_f32_e32 v13, 0x3d64c772, v7
	s_delay_alu instid0(VALU_DEP_3) | instskip(NEXT) | instid1(VALU_DEP_3)
	v_mul_f32_e32 v15, 0x3d64c772, v12
	v_fmamk_f32 v7, v7, 0x3d64c772, v10
	s_delay_alu instid0(VALU_DEP_3) | instskip(SKIP_4) | instid1(VALU_DEP_4)
	v_fma_f32 v13, 0x3f3bfb3b, v16, -v13
	v_fma_f32 v10, 0xbf3bfb3b, v16, -v10
	v_fmamk_f32 v16, v14, 0xbeae86e6, v18
	v_fma_f32 v18, 0xbf5ff5aa, v3, -v18
	v_fma_f32 v14, 0x3eae86e6, v14, -v20
	v_dual_add_f32 v10, v10, v8 :: v_dual_add_f32 v1, v1, v9
	s_delay_alu instid0(VALU_DEP_3)
	v_fmac_f32_e32 v18, 0xbee1c552, v6
	v_mul_f32_e32 v11, 0x3f4a47b2, v11
	v_fmac_f32_e32 v16, 0xbee1c552, v6
	v_fma_f32 v15, 0x3f3bfb3b, v17, -v15
	v_fmamk_f32 v9, v9, 0xbf955555, v1
	v_fmac_f32_e32 v14, 0xbee1c552, v6
	v_fmamk_f32 v12, v12, 0x3d64c772, v11
	v_fma_f32 v11, 0xbf3bfb3b, v17, -v11
	v_fmamk_f32 v17, v5, 0xbeae86e6, v19
	v_fma_f32 v19, 0xbf5ff5aa, v4, -v19
	s_delay_alu instid0(VALU_DEP_4) | instskip(NEXT) | instid1(VALU_DEP_3)
	v_add_f32_e32 v22, v12, v9
	v_dual_add_f32 v12, v13, v8 :: v_dual_fmac_f32 v17, 0xbee1c552, v2
	s_delay_alu instid0(VALU_DEP_3) | instskip(SKIP_2) | instid1(VALU_DEP_3)
	v_fmac_f32_e32 v19, 0xbee1c552, v2
	v_add_f32_e32 v13, v15, v9
	v_add_f32_e32 v11, v11, v9
	v_dual_sub_f32 v3, v22, v16 :: v_dual_sub_f32 v6, v12, v19
	v_fma_f32 v20, 0x3eae86e6, v5, -v21
	v_add_f32_e32 v21, v7, v8
	s_delay_alu instid0(VALU_DEP_4) | instskip(SKIP_1) | instid1(VALU_DEP_4)
	v_sub_f32_e32 v5, v11, v14
	v_dual_add_f32 v7, v18, v13 :: v_dual_add_f32 v8, v19, v12
	v_fmac_f32_e32 v20, 0xbee1c552, v2
	s_delay_alu instid0(VALU_DEP_4) | instskip(SKIP_2) | instid1(VALU_DEP_4)
	v_add_f32_e32 v2, v17, v21
	v_sub_f32_e32 v9, v13, v18
	v_dual_add_f32 v11, v14, v11 :: v_dual_sub_f32 v12, v21, v17
	v_add_f32_e32 v4, v20, v10
	v_dual_sub_f32 v10, v10, v20 :: v_dual_add_f32 v13, v16, v22
	ds_store_2addr_b64 v69, v[0:1], v[2:3] offset1:245
	ds_store_2addr_b64 v63, v[4:5], v[6:7] offset0:10 offset1:255
	ds_store_2addr_b64 v64, v[8:9], v[10:11] offset0:4 offset1:249
	ds_store_b64 v69, v[12:13] offset:11760
	global_wb scope:SCOPE_SE
	s_wait_dscnt 0x0
	s_barrier_signal -1
	s_barrier_wait -1
	global_inv scope:SCOPE_SE
	ds_load_b64 v[0:1], v69
	ds_load_b64 v[2:3], v69 offset:2744
	ds_load_b64 v[4:5], v69 offset:5488
	;; [unrolled: 1-line block ×4, first 2 shown]
	v_mad_co_u64_u32 v[20:21], null, s6, v36, 0
	v_mad_co_u64_u32 v[22:23], null, s4, v70, 0
	s_delay_alu instid0(VALU_DEP_1)
	v_mad_co_u64_u32 v[24:25], null, s7, v36, v[21:22]
	s_mul_u64 s[6:7], s[4:5], 0x157
	s_wait_alu 0xfffe
	s_lshl_b64 s[6:7], s[6:7], 3
	s_wait_dscnt 0x4
	v_mul_f32_e32 v10, v40, v1
	s_wait_dscnt 0x2
	v_dual_mul_f32 v11, v40, v0 :: v_dual_mul_f32 v14, v42, v5
	v_mul_f32_e32 v12, v44, v3
	s_wait_dscnt 0x0
	v_mul_f32_e32 v18, v48, v9
	v_dual_mul_f32 v13, v44, v2 :: v_dual_mul_f32 v16, v46, v7
	v_fmac_f32_e32 v14, v41, v4
	v_mul_f32_e32 v4, v42, v4
	v_mul_f32_e32 v17, v46, v6
	;; [unrolled: 1-line block ×3, first 2 shown]
	v_fmac_f32_e32 v10, v39, v0
	v_fma_f32 v11, v39, v1, -v11
	v_fmac_f32_e32 v12, v43, v2
	v_fma_f32 v13, v43, v3, -v13
	v_fma_f32 v4, v41, v5, -v4
	v_fmac_f32_e32 v16, v45, v6
	v_fma_f32 v17, v45, v7, -v17
	v_fmac_f32_e32 v18, v47, v8
	v_fma_f32 v19, v47, v9, -v19
	v_cvt_f64_f32_e32 v[0:1], v10
	v_cvt_f64_f32_e32 v[2:3], v11
	;; [unrolled: 1-line block ×10, first 2 shown]
	v_mad_co_u64_u32 v[25:26], null, s5, v70, v[23:24]
	v_mov_b32_e32 v21, v24
	s_delay_alu instid0(VALU_DEP_2)
	v_mov_b32_e32 v23, v25
	v_mul_f64_e32 v[0:1], s[2:3], v[0:1]
	v_mul_f64_e32 v[2:3], s[2:3], v[2:3]
	v_mul_f64_e32 v[10:11], s[2:3], v[10:11]
	v_mul_f64_e32 v[12:13], s[2:3], v[12:13]
	v_mul_f64_e32 v[14:15], s[2:3], v[14:15]
	v_mul_f64_e32 v[4:5], s[2:3], v[4:5]
	v_mul_f64_e32 v[6:7], s[2:3], v[6:7]
	v_mul_f64_e32 v[8:9], s[2:3], v[8:9]
	v_mul_f64_e32 v[16:17], s[2:3], v[16:17]
	v_mul_f64_e32 v[18:19], s[2:3], v[18:19]
	v_cvt_f32_f64_e32 v26, v[0:1]
	v_cvt_f32_f64_e32 v27, v[2:3]
	v_lshlrev_b64_e32 v[0:1], 3, v[20:21]
	v_cvt_f32_f64_e32 v2, v[10:11]
	v_cvt_f32_f64_e32 v3, v[12:13]
	;; [unrolled: 1-line block ×8, first 2 shown]
	v_lshlrev_b64_e32 v[8:9], 3, v[22:23]
	v_add_co_u32 v0, s0, s10, v0
	s_wait_alu 0xf1ff
	v_add_co_ci_u32_e64 v1, s0, s11, v1, s0
	s_delay_alu instid0(VALU_DEP_2) | instskip(SKIP_1) | instid1(VALU_DEP_2)
	v_add_co_u32 v8, s0, v0, v8
	s_wait_alu 0xf1ff
	v_add_co_ci_u32_e64 v9, s0, v1, v9, s0
	s_wait_alu 0xfffe
	s_delay_alu instid0(VALU_DEP_2) | instskip(SKIP_1) | instid1(VALU_DEP_2)
	v_add_co_u32 v12, s0, v8, s6
	s_wait_alu 0xf1ff
	v_add_co_ci_u32_e64 v13, s0, s7, v9, s0
	s_delay_alu instid0(VALU_DEP_2) | instskip(SKIP_1) | instid1(VALU_DEP_2)
	v_add_co_u32 v14, s0, v12, s6
	s_wait_alu 0xf1ff
	v_add_co_ci_u32_e64 v15, s0, s7, v13, s0
	;; [unrolled: 4-line block ×4, first 2 shown]
	s_clause 0x4
	global_store_b64 v[8:9], v[26:27], off
	global_store_b64 v[12:13], v[2:3], off
	;; [unrolled: 1-line block ×5, first 2 shown]
	s_and_b32 exec_lo, exec_lo, vcc_lo
	s_cbranch_execz .LBB0_15
; %bb.14:
	s_clause 0x4
	global_load_b64 v[2:3], v[37:38], off offset:1960
	global_load_b64 v[4:5], v[37:38], off offset:4704
	;; [unrolled: 1-line block ×5, first 2 shown]
	ds_load_b64 v[12:13], v69 offset:1960
	ds_load_b64 v[14:15], v69 offset:4704
	ds_load_b64 v[16:17], v69 offset:7448
	ds_load_b64 v[18:19], v69 offset:10192
	ds_load_b64 v[20:21], v69 offset:12936
	v_mad_co_u64_u32 v[0:1], null, 0xffffdcc8, s4, v[0:1]
	s_mul_i32 s0, s5, 0xffffdcc8
	s_wait_alu 0xfffe
	s_sub_co_i32 s0, s0, s4
	s_wait_loadcnt_dscnt 0x404
	s_wait_alu 0xfffe
	s_delay_alu instid0(VALU_DEP_1)
	v_dual_mul_f32 v22, v13, v3 :: v_dual_add_nc_u32 v1, s0, v1
	s_wait_loadcnt_dscnt 0x303
	v_mul_f32_e32 v23, v15, v5
	v_mul_f32_e32 v3, v12, v3
	s_wait_loadcnt_dscnt 0x202
	v_dual_mul_f32 v5, v14, v5 :: v_dual_mul_f32 v24, v17, v7
	v_mul_f32_e32 v7, v16, v7
	s_wait_loadcnt_dscnt 0x0
	v_dual_mul_f32 v25, v19, v9 :: v_dual_mul_f32 v26, v21, v11
	v_dual_mul_f32 v9, v18, v9 :: v_dual_fmac_f32 v22, v12, v2
	v_mul_f32_e32 v11, v20, v11
	v_fma_f32 v12, v2, v13, -v3
	v_dual_fmac_f32 v23, v14, v4 :: v_dual_fmac_f32 v24, v16, v6
	v_fma_f32 v13, v4, v15, -v5
	v_fma_f32 v14, v6, v17, -v7
	v_dual_fmac_f32 v25, v18, v8 :: v_dual_fmac_f32 v26, v20, v10
	v_fma_f32 v16, v8, v19, -v9
	v_fma_f32 v20, v10, v21, -v11
	v_cvt_f64_f32_e32 v[2:3], v22
	v_cvt_f64_f32_e32 v[4:5], v12
	;; [unrolled: 1-line block ×10, first 2 shown]
	v_mul_f64_e32 v[2:3], s[2:3], v[2:3]
	v_mul_f64_e32 v[4:5], s[2:3], v[4:5]
	;; [unrolled: 1-line block ×10, first 2 shown]
	v_cvt_f32_f64_e32 v2, v[2:3]
	v_cvt_f32_f64_e32 v3, v[4:5]
	;; [unrolled: 1-line block ×10, first 2 shown]
	v_add_co_u32 v12, vcc_lo, v0, s6
	s_wait_alu 0xfffd
	v_add_co_ci_u32_e32 v13, vcc_lo, s7, v1, vcc_lo
	s_delay_alu instid0(VALU_DEP_2) | instskip(SKIP_1) | instid1(VALU_DEP_2)
	v_add_co_u32 v14, vcc_lo, v12, s6
	s_wait_alu 0xfffd
	v_add_co_ci_u32_e32 v15, vcc_lo, s7, v13, vcc_lo
	s_delay_alu instid0(VALU_DEP_2) | instskip(SKIP_1) | instid1(VALU_DEP_2)
	;; [unrolled: 4-line block ×3, first 2 shown]
	v_add_co_u32 v18, vcc_lo, v16, s6
	s_wait_alu 0xfffd
	v_add_co_ci_u32_e32 v19, vcc_lo, s7, v17, vcc_lo
	global_store_b64 v[0:1], v[2:3], off
	global_store_b64 v[12:13], v[4:5], off
	;; [unrolled: 1-line block ×5, first 2 shown]
.LBB0_15:
	s_nop 0
	s_sendmsg sendmsg(MSG_DEALLOC_VGPRS)
	s_endpgm
	.section	.rodata,"a",@progbits
	.p2align	6, 0x0
	.amdhsa_kernel bluestein_single_back_len1715_dim1_sp_op_CI_CI
		.amdhsa_group_segment_fixed_size 13720
		.amdhsa_private_segment_fixed_size 0
		.amdhsa_kernarg_size 104
		.amdhsa_user_sgpr_count 2
		.amdhsa_user_sgpr_dispatch_ptr 0
		.amdhsa_user_sgpr_queue_ptr 0
		.amdhsa_user_sgpr_kernarg_segment_ptr 1
		.amdhsa_user_sgpr_dispatch_id 0
		.amdhsa_user_sgpr_private_segment_size 0
		.amdhsa_wavefront_size32 1
		.amdhsa_uses_dynamic_stack 0
		.amdhsa_enable_private_segment 0
		.amdhsa_system_sgpr_workgroup_id_x 1
		.amdhsa_system_sgpr_workgroup_id_y 0
		.amdhsa_system_sgpr_workgroup_id_z 0
		.amdhsa_system_sgpr_workgroup_info 0
		.amdhsa_system_vgpr_workitem_id 0
		.amdhsa_next_free_vgpr 91
		.amdhsa_next_free_sgpr 16
		.amdhsa_reserve_vcc 1
		.amdhsa_float_round_mode_32 0
		.amdhsa_float_round_mode_16_64 0
		.amdhsa_float_denorm_mode_32 3
		.amdhsa_float_denorm_mode_16_64 3
		.amdhsa_fp16_overflow 0
		.amdhsa_workgroup_processor_mode 1
		.amdhsa_memory_ordered 1
		.amdhsa_forward_progress 0
		.amdhsa_round_robin_scheduling 0
		.amdhsa_exception_fp_ieee_invalid_op 0
		.amdhsa_exception_fp_denorm_src 0
		.amdhsa_exception_fp_ieee_div_zero 0
		.amdhsa_exception_fp_ieee_overflow 0
		.amdhsa_exception_fp_ieee_underflow 0
		.amdhsa_exception_fp_ieee_inexact 0
		.amdhsa_exception_int_div_zero 0
	.end_amdhsa_kernel
	.text
.Lfunc_end0:
	.size	bluestein_single_back_len1715_dim1_sp_op_CI_CI, .Lfunc_end0-bluestein_single_back_len1715_dim1_sp_op_CI_CI
                                        ; -- End function
	.section	.AMDGPU.csdata,"",@progbits
; Kernel info:
; codeLenInByte = 9712
; NumSgprs: 18
; NumVgprs: 91
; ScratchSize: 0
; MemoryBound: 0
; FloatMode: 240
; IeeeMode: 1
; LDSByteSize: 13720 bytes/workgroup (compile time only)
; SGPRBlocks: 2
; VGPRBlocks: 11
; NumSGPRsForWavesPerEU: 18
; NumVGPRsForWavesPerEU: 91
; Occupancy: 16
; WaveLimiterHint : 1
; COMPUTE_PGM_RSRC2:SCRATCH_EN: 0
; COMPUTE_PGM_RSRC2:USER_SGPR: 2
; COMPUTE_PGM_RSRC2:TRAP_HANDLER: 0
; COMPUTE_PGM_RSRC2:TGID_X_EN: 1
; COMPUTE_PGM_RSRC2:TGID_Y_EN: 0
; COMPUTE_PGM_RSRC2:TGID_Z_EN: 0
; COMPUTE_PGM_RSRC2:TIDIG_COMP_CNT: 0
	.text
	.p2alignl 7, 3214868480
	.fill 96, 4, 3214868480
	.type	__hip_cuid_15e8ed356235ebff,@object ; @__hip_cuid_15e8ed356235ebff
	.section	.bss,"aw",@nobits
	.globl	__hip_cuid_15e8ed356235ebff
__hip_cuid_15e8ed356235ebff:
	.byte	0                               ; 0x0
	.size	__hip_cuid_15e8ed356235ebff, 1

	.ident	"AMD clang version 19.0.0git (https://github.com/RadeonOpenCompute/llvm-project roc-6.4.0 25133 c7fe45cf4b819c5991fe208aaa96edf142730f1d)"
	.section	".note.GNU-stack","",@progbits
	.addrsig
	.addrsig_sym __hip_cuid_15e8ed356235ebff
	.amdgpu_metadata
---
amdhsa.kernels:
  - .args:
      - .actual_access:  read_only
        .address_space:  global
        .offset:         0
        .size:           8
        .value_kind:     global_buffer
      - .actual_access:  read_only
        .address_space:  global
        .offset:         8
        .size:           8
        .value_kind:     global_buffer
      - .actual_access:  read_only
        .address_space:  global
        .offset:         16
        .size:           8
        .value_kind:     global_buffer
      - .actual_access:  read_only
        .address_space:  global
        .offset:         24
        .size:           8
        .value_kind:     global_buffer
      - .actual_access:  read_only
        .address_space:  global
        .offset:         32
        .size:           8
        .value_kind:     global_buffer
      - .offset:         40
        .size:           8
        .value_kind:     by_value
      - .address_space:  global
        .offset:         48
        .size:           8
        .value_kind:     global_buffer
      - .address_space:  global
        .offset:         56
        .size:           8
        .value_kind:     global_buffer
      - .address_space:  global
        .offset:         64
        .size:           8
        .value_kind:     global_buffer
      - .address_space:  global
        .offset:         72
        .size:           8
        .value_kind:     global_buffer
      - .offset:         80
        .size:           4
        .value_kind:     by_value
      - .address_space:  global
        .offset:         88
        .size:           8
        .value_kind:     global_buffer
      - .address_space:  global
        .offset:         96
        .size:           8
        .value_kind:     global_buffer
    .group_segment_fixed_size: 13720
    .kernarg_segment_align: 8
    .kernarg_segment_size: 104
    .language:       OpenCL C
    .language_version:
      - 2
      - 0
    .max_flat_workgroup_size: 245
    .name:           bluestein_single_back_len1715_dim1_sp_op_CI_CI
    .private_segment_fixed_size: 0
    .sgpr_count:     18
    .sgpr_spill_count: 0
    .symbol:         bluestein_single_back_len1715_dim1_sp_op_CI_CI.kd
    .uniform_work_group_size: 1
    .uses_dynamic_stack: false
    .vgpr_count:     91
    .vgpr_spill_count: 0
    .wavefront_size: 32
    .workgroup_processor_mode: 1
amdhsa.target:   amdgcn-amd-amdhsa--gfx1201
amdhsa.version:
  - 1
  - 2
...

	.end_amdgpu_metadata
